;; amdgpu-corpus repo=ROCm/rocFFT kind=compiled arch=gfx950 opt=O3
	.text
	.amdgcn_target "amdgcn-amd-amdhsa--gfx950"
	.amdhsa_code_object_version 6
	.protected	bluestein_single_fwd_len612_dim1_sp_op_CI_CI ; -- Begin function bluestein_single_fwd_len612_dim1_sp_op_CI_CI
	.globl	bluestein_single_fwd_len612_dim1_sp_op_CI_CI
	.p2align	8
	.type	bluestein_single_fwd_len612_dim1_sp_op_CI_CI,@function
bluestein_single_fwd_len612_dim1_sp_op_CI_CI: ; @bluestein_single_fwd_len612_dim1_sp_op_CI_CI
; %bb.0:
	s_load_dwordx4 s[8:11], s[0:1], 0x28
	v_mul_u32_u24_e32 v1, 0x506, v0
	v_add_u32_sdwa v250, s2, v1 dst_sel:DWORD dst_unused:UNUSED_PAD src0_sel:DWORD src1_sel:WORD_1
	v_mov_b32_e32 v251, 0
	s_waitcnt lgkmcnt(0)
	v_cmp_gt_u64_e32 vcc, s[8:9], v[250:251]
	s_and_saveexec_b64 s[2:3], vcc
	s_cbranch_execz .LBB0_15
; %bb.1:
	s_load_dwordx2 s[8:9], s[0:1], 0x0
	s_load_dwordx2 s[12:13], s[0:1], 0x38
	v_mov_b32_e32 v2, 51
	v_mul_lo_u16_sdwa v1, v1, v2 dst_sel:DWORD dst_unused:UNUSED_PAD src0_sel:WORD_1 src1_sel:DWORD
	v_sub_u16_e32 v248, v0, v1
	v_cmp_gt_u16_e32 vcc, 36, v248
	v_lshlrev_b32_e32 v58, 3, v248
	s_and_saveexec_b64 s[14:15], vcc
	s_cbranch_execz .LBB0_3
; %bb.2:
	s_load_dwordx2 s[2:3], s[0:1], 0x18
	v_mov_b32_e32 v0, s10
	v_mov_b32_e32 v1, s11
	;; [unrolled: 1-line block ×3, first 2 shown]
	v_or_b32_e32 v76, 0x240, v248
	s_waitcnt lgkmcnt(0)
	s_load_dwordx4 s[4:7], s[2:3], 0x0
	v_lshlrev_b32_e32 v34, 3, v76
	v_mov_b32_e32 v59, 0
	v_lshl_add_u64 v[32:33], s[8:9], 0, v[58:59]
	s_waitcnt lgkmcnt(0)
	v_mad_u64_u32 v[2:3], s[2:3], s6, v250, 0
	v_mad_u64_u32 v[4:5], s[2:3], s4, v248, 0
	v_mov_b32_e32 v6, v3
	v_mov_b32_e32 v8, v5
	v_mad_u64_u32 v[6:7], s[2:3], s7, v250, v[6:7]
	v_mov_b32_e32 v3, v6
	v_mad_u64_u32 v[6:7], s[2:3], s5, v248, v[8:9]
	v_mov_b32_e32 v5, v6
	v_lshl_add_u64 v[2:3], v[2:3], 3, v[0:1]
	v_lshl_add_u64 v[4:5], v[4:5], 3, v[2:3]
	v_mad_u64_u32 v[12:13], s[2:3], s4, v72, v[4:5]
	s_mul_i32 s6, s5, 0x120
	v_add_u32_e32 v13, s6, v13
	v_mad_u64_u32 v[20:21], s[2:3], s4, v72, v[12:13]
	v_add_u32_e32 v21, s6, v21
	v_mad_u64_u32 v[22:23], s[2:3], s4, v72, v[20:21]
	;; [unrolled: 2-line block ×3, first 2 shown]
	v_add_u32_e32 v37, s6, v37
	global_load_dwordx2 v[0:1], v[4:5], off
	s_nop 0
	global_load_dwordx2 v[4:5], v[12:13], off
	global_load_dwordx2 v[8:9], v58, s[8:9]
	global_load_dwordx2 v[6:7], v58, s[8:9] offset:288
	global_load_dwordx2 v[10:11], v58, s[8:9] offset:576
	s_nop 0
	global_load_dwordx2 v[12:13], v58, s[8:9] offset:864
	global_load_dwordx2 v[14:15], v58, s[8:9] offset:1152
	;; [unrolled: 1-line block ×8, first 2 shown]
	s_nop 0
	global_load_dwordx2 v[34:35], v34, s[8:9]
	s_nop 0
	global_load_dwordx2 v[20:21], v[20:21], off
	s_nop 0
	global_load_dwordx2 v[38:39], v[22:23], off
	global_load_dwordx2 v[40:41], v[36:37], off
	v_mad_u64_u32 v[22:23], s[2:3], s4, v72, v[36:37]
	v_add_u32_e32 v23, s6, v23
	global_load_dwordx2 v[36:37], v[22:23], off
	v_mad_u64_u32 v[22:23], s[2:3], s4, v72, v[22:23]
	v_add_u32_e32 v23, s6, v23
	;; [unrolled: 3-line block ×9, first 2 shown]
	global_load_dwordx2 v[56:57], v[22:23], off
	global_load_dwordx2 v[60:61], v58, s[8:9] offset:3168
	v_mad_u64_u32 v[22:23], s[2:3], s4, v72, v[22:23]
	s_movk_i32 s2, 0x1000
	v_add_u32_e32 v23, s6, v23
	v_add_co_u32_e64 v32, s[2:3], s2, v32
	global_load_dwordx2 v[62:63], v58, s[8:9] offset:3456
	global_load_dwordx2 v[64:65], v58, s[8:9] offset:3744
	v_addc_co_u32_e64 v33, s[2:3], 0, v33, s[2:3]
	global_load_dwordx2 v[68:69], v[22:23], off
	global_load_dwordx2 v[70:71], v58, s[8:9] offset:4032
	v_mad_u64_u32 v[22:23], s[2:3], s4, v72, v[22:23]
	v_mad_u64_u32 v[66:67], s[2:3], s4, v76, 0
	v_add_u32_e32 v23, s6, v23
	global_load_dwordx2 v[72:73], v[22:23], off
	global_load_dwordx2 v[74:75], v[32:33], off offset:224
	v_mov_b32_e32 v22, v67
	v_mad_u64_u32 v[22:23], s[2:3], s5, v76, v[22:23]
	v_mov_b32_e32 v67, v22
	v_lshl_add_u64 v[2:3], v[66:67], 3, v[2:3]
	global_load_dwordx2 v[2:3], v[2:3], off
	s_waitcnt vmcnt(31)
	v_mul_f32_e32 v22, v0, v9
	v_fma_f32 v23, v1, v8, -v22
	v_mul_f32_e32 v22, v1, v9
	v_fmac_f32_e32 v22, v0, v8
	s_waitcnt vmcnt(30)
	v_mul_f32_e32 v0, v4, v7
	v_fma_f32 v1, v5, v6, -v0
	v_mul_f32_e32 v0, v5, v7
	v_fmac_f32_e32 v0, v4, v6
	ds_write2_b64 v58, v[22:23], v[0:1] offset1:36
	s_waitcnt vmcnt(19)
	v_mul_f32_e32 v0, v20, v11
	v_fma_f32 v1, v21, v10, -v0
	v_mul_f32_e32 v0, v21, v11
	s_waitcnt vmcnt(18)
	v_mul_f32_e32 v4, v39, v13
	v_mul_f32_e32 v5, v38, v13
	v_fmac_f32_e32 v0, v20, v10
	v_fmac_f32_e32 v4, v38, v12
	v_fma_f32 v5, v39, v12, -v5
	ds_write2_b64 v58, v[0:1], v[4:5] offset0:72 offset1:108
	s_waitcnt vmcnt(17)
	v_mul_f32_e32 v0, v40, v15
	v_fma_f32 v1, v41, v14, -v0
	v_mul_f32_e32 v0, v41, v15
	s_waitcnt vmcnt(16)
	v_mul_f32_e32 v4, v37, v17
	v_mul_f32_e32 v5, v36, v17
	v_fmac_f32_e32 v0, v40, v14
	v_fmac_f32_e32 v4, v36, v16
	v_fma_f32 v5, v37, v16, -v5
	ds_write2_b64 v58, v[0:1], v[4:5] offset0:144 offset1:180
	s_waitcnt vmcnt(15)
	v_mul_f32_e32 v0, v43, v19
	v_mul_f32_e32 v1, v42, v19
	s_waitcnt vmcnt(14)
	v_mul_f32_e32 v4, v45, v25
	v_mul_f32_e32 v5, v44, v25
	v_fmac_f32_e32 v0, v42, v18
	v_fma_f32 v1, v43, v18, -v1
	v_fmac_f32_e32 v4, v44, v24
	v_fma_f32 v5, v45, v24, -v5
	ds_write2_b64 v58, v[0:1], v[4:5] offset0:216 offset1:252
	s_waitcnt vmcnt(13)
	v_mul_f32_e32 v0, v47, v27
	v_mul_f32_e32 v1, v46, v27
	s_waitcnt vmcnt(12)
	v_mul_f32_e32 v4, v49, v29
	v_mul_f32_e32 v5, v48, v29
	v_fmac_f32_e32 v0, v46, v26
	v_fma_f32 v1, v47, v26, -v1
	v_fmac_f32_e32 v4, v48, v28
	v_fma_f32 v5, v49, v28, -v5
	v_add_u32_e32 v6, 0x800, v58
	ds_write2_b64 v6, v[0:1], v[4:5] offset0:32 offset1:68
	s_waitcnt vmcnt(11)
	v_mul_f32_e32 v0, v51, v31
	v_mul_f32_e32 v1, v50, v31
	s_waitcnt vmcnt(7)
	v_mul_f32_e32 v4, v53, v61
	v_mul_f32_e32 v5, v52, v61
	v_fmac_f32_e32 v0, v50, v30
	v_fma_f32 v1, v51, v30, -v1
	v_fmac_f32_e32 v4, v52, v60
	v_fma_f32 v5, v53, v60, -v5
	ds_write2_b64 v6, v[0:1], v[4:5] offset0:104 offset1:140
	s_waitcnt vmcnt(6)
	v_mul_f32_e32 v0, v55, v63
	v_mul_f32_e32 v1, v54, v63
	s_waitcnt vmcnt(5)
	v_mul_f32_e32 v4, v57, v65
	v_mul_f32_e32 v5, v56, v65
	v_fmac_f32_e32 v0, v54, v62
	v_fma_f32 v1, v55, v62, -v1
	v_fmac_f32_e32 v4, v56, v64
	v_fma_f32 v5, v57, v64, -v5
	;; [unrolled: 11-line block ×3, first 2 shown]
	v_add_u32_e32 v6, 0xc00, v58
	ds_write2_b64 v6, v[0:1], v[4:5] offset0:120 offset1:156
	s_waitcnt vmcnt(0)
	v_mul_f32_e32 v0, v3, v35
	v_mul_f32_e32 v1, v2, v35
	v_fmac_f32_e32 v0, v2, v34
	v_fma_f32 v1, v3, v34, -v1
	ds_write_b64 v58, v[0:1] offset:4608
.LBB0_3:
	s_or_b64 exec, exec, s[14:15]
	s_load_dwordx2 s[4:5], s[0:1], 0x20
	s_load_dwordx2 s[2:3], s[0:1], 0x8
	v_mov_b32_e32 v0, 0
	v_mov_b32_e32 v1, 0
	s_waitcnt lgkmcnt(0)
	; wave barrier
	s_waitcnt lgkmcnt(0)
                                        ; implicit-def: $vgpr6
                                        ; implicit-def: $vgpr12
                                        ; implicit-def: $vgpr10
                                        ; implicit-def: $vgpr20
                                        ; implicit-def: $vgpr18
                                        ; implicit-def: $vgpr44
                                        ; implicit-def: $vgpr38
                                        ; implicit-def: $vgpr34
	s_and_saveexec_b64 s[0:1], vcc
	s_cbranch_execz .LBB0_5
; %bb.4:
	ds_read2_b64 v[0:3], v58 offset1:36
	ds_read2_b64 v[32:35], v58 offset0:72 offset1:108
	ds_read2_b64 v[16:19], v58 offset0:144 offset1:180
	ds_read2_b64 v[8:11], v58 offset0:216 offset1:252
	v_add_u32_e32 v20, 0x800, v58
	ds_read2_b64 v[4:7], v20 offset0:32 offset1:68
	ds_read2_b64 v[12:15], v20 offset0:104 offset1:140
	;; [unrolled: 1-line block ×3, first 2 shown]
	v_add_u32_e32 v24, 0xc00, v58
	ds_read2_b64 v[36:39], v24 offset0:120 offset1:156
	ds_read_b64 v[44:45], v58 offset:4608
.LBB0_5:
	s_or_b64 exec, exec, s[0:1]
	s_mov_b32 s10, 0xbf2c7751
	s_waitcnt lgkmcnt(0)
	v_pk_add_f32 v[62:63], v[44:45], v[2:3]
	v_pk_add_f32 v[24:25], v[2:3], v[44:45] neg_lo:[0,1] neg_hi:[0,1]
	s_mov_b32 s11, 0x3f3d2fb0
	s_mov_b32 s6, 0xbf7ee86f
	;; [unrolled: 1-line block ×3, first 2 shown]
	v_mov_b32_e32 v41, v63
	v_mov_b32_e32 v63, v24
	v_pk_add_f32 v[84:85], v[38:39], v[32:33]
	v_pk_add_f32 v[78:79], v[32:33], v[38:39] neg_lo:[0,1] neg_hi:[0,1]
	s_mov_b32 s0, s11
	s_mov_b32 s1, s10
	;; [unrolled: 1-line block ×4, first 2 shown]
	v_mov_b32_e32 v40, v25
	v_pk_mul_f32 v[66:67], v[62:63], s[0:1]
	v_mov_b32_e32 v76, v84
	v_mov_b32_e32 v77, v78
	s_mov_b32 s36, s7
	s_mov_b32 s37, s6
	;; [unrolled: 1-line block ×4, first 2 shown]
	v_pk_fma_f32 v[64:65], v[40:41], s[10:11], v[66:67]
	v_pk_fma_f32 v[24:25], v[40:41], s[10:11], v[66:67] neg_lo:[0,0,1] neg_hi:[0,0,1]
	v_mov_b32_e32 v42, v79
	v_mov_b32_e32 v43, v85
	v_pk_mul_f32 v[72:73], v[76:77], s[36:37]
	v_pk_mul_f32 v[92:93], v[62:63], s[0:1]
	s_mov_b32 s0, 0xbf4c4adb
	v_pk_fma_f32 v[70:71], v[42:43], s[6:7], v[72:73]
	v_pk_fma_f32 v[26:27], v[42:43], s[6:7], v[72:73] neg_lo:[0,0,1] neg_hi:[0,0,1]
	v_mov_b32_e32 v24, v64
	s_mov_b32 s1, 0xbf1a4643
	v_pk_add_f32 v[24:25], v[24:25], v[0:1]
	v_mov_b32_e32 v26, v70
	s_mov_b32 s40, s1
	s_mov_b32 s41, s0
	v_pk_add_f32 v[24:25], v[26:27], v[24:25]
	v_pk_fma_f32 v[94:95], v[40:41], s[14:15], v[92:93]
	v_pk_fma_f32 v[26:27], v[40:41], s[14:15], v[92:93] neg_lo:[0,0,1] neg_hi:[0,0,1]
	v_pk_mul_f32 v[98:99], v[76:77], s[40:41]
	v_mov_b32_e32 v26, v94
	v_pk_fma_f32 v[96:97], v[42:43], s[0:1], v[98:99]
	v_pk_fma_f32 v[28:29], v[42:43], s[0:1], v[98:99] neg_lo:[0,0,1] neg_hi:[0,0,1]
	v_pk_add_f32 v[26:27], v[26:27], v[0:1]
	v_mov_b32_e32 v28, v96
	v_pk_add_f32 v[48:49], v[34:35], v[36:37] neg_lo:[0,1] neg_hi:[0,1]
	v_pk_add_f32 v[26:27], v[28:29], v[26:27]
	s_mov_b32 s46, s1
	v_pk_add_f32 v[46:47], v[36:37], v[34:35]
	v_pk_mul_f32 v[28:29], v[48:49], s[0:1] op_sel_hi:[1,0]
	s_mov_b32 s18, 0xbe3c28d5
	v_pk_fma_f32 v[82:83], v[46:47], s[46:47], v[28:29] op_sel:[0,0,1] op_sel_hi:[1,0,0]
	v_pk_fma_f32 v[86:87], v[46:47], s[46:47], v[28:29] op_sel:[0,0,1] op_sel_hi:[1,0,0] neg_lo:[0,0,1] neg_hi:[0,0,1]
	v_mov_b32_e32 v28, v82
	v_mov_b32_e32 v29, v87
	s_mov_b32 s19, 0xbf7ba420
	s_mov_b32 s16, 0x3e3c28d5
	v_pk_add_f32 v[24:25], v[28:29], v[24:25]
	s_mov_b32 s44, s19
	v_pk_mul_f32 v[28:29], v[48:49], s[16:17] op_sel_hi:[1,0]
	v_pk_add_f32 v[126:127], v[16:17], v[22:23] neg_lo:[0,1] neg_hi:[0,1]
	v_pk_fma_f32 v[108:109], v[46:47], s[44:45], v[28:29] op_sel:[0,0,1] op_sel_hi:[1,0,0]
	v_pk_fma_f32 v[80:81], v[46:47], s[44:45], v[28:29] op_sel:[0,0,1] op_sel_hi:[1,0,0] neg_lo:[0,0,1] neg_hi:[0,0,1]
	v_mov_b32_e32 v28, v108
	v_mov_b32_e32 v29, v81
	v_pk_add_f32 v[26:27], v[28:29], v[26:27]
	v_pk_add_f32 v[50:51], v[22:23], v[16:17]
	v_pk_mul_f32 v[28:29], v[126:127], s[18:19] op_sel:[1,0] op_sel_hi:[0,0]
	v_pk_fma_f32 v[100:101], v[50:51], s[44:45], v[28:29] op_sel_hi:[1,0,1]
	v_pk_fma_f32 v[102:103], v[50:51], s[44:45], v[28:29] op_sel_hi:[1,0,1] neg_lo:[0,0,1] neg_hi:[0,0,1]
	s_mov_b32 s20, 0xbf763a35
	v_mov_b32_e32 v28, v100
	v_mov_b32_e32 v29, v103
	s_mov_b32 s21, 0xbe8c1d8e
	s_mov_b32 s16, 0x3f763a35
	v_pk_add_f32 v[24:25], v[28:29], v[24:25]
	s_mov_b32 s48, s21
	v_pk_mul_f32 v[28:29], v[126:127], s[16:17] op_sel:[1,0] op_sel_hi:[0,0]
	v_pk_fma_f32 v[88:89], v[50:51], s[48:49], v[28:29] op_sel_hi:[1,0,1]
	v_pk_fma_f32 v[90:91], v[50:51], s[48:49], v[28:29] op_sel_hi:[1,0,1] neg_lo:[0,0,1] neg_hi:[0,0,1]
	s_mov_b32 s30, 0x3f06c442
	v_mov_b32_e32 v28, v88
	v_mov_b32_e32 v29, v91
	s_mov_b32 s31, 0xbf59a7d5
	v_pk_add_f32 v[128:129], v[18:19], v[20:21] neg_lo:[0,1] neg_hi:[0,1]
	v_pk_add_f32 v[26:27], v[28:29], v[26:27]
	s_mov_b32 s50, s31
	v_pk_add_f32 v[52:53], v[20:21], v[18:19]
	v_pk_mul_f32 v[28:29], v[128:129], s[30:31] op_sel:[1,0] op_sel_hi:[0,0]
	v_pk_fma_f32 v[110:111], v[52:53], s[50:51], v[28:29] op_sel_hi:[1,0,1]
	v_pk_fma_f32 v[112:113], v[52:53], s[50:51], v[28:29] op_sel_hi:[1,0,1] neg_lo:[0,0,1] neg_hi:[0,0,1]
	v_mov_b32_e32 v28, v110
	v_mov_b32_e32 v29, v113
	s_mov_b32 s24, 0x3f2c7751
	v_pk_add_f32 v[24:25], v[28:29], v[24:25]
	s_mov_b32 s54, s11
	v_pk_mul_f32 v[28:29], v[128:129], s[24:25] op_sel:[1,0] op_sel_hi:[0,0]
	v_pk_fma_f32 v[104:105], v[52:53], s[54:55], v[28:29] op_sel_hi:[1,0,1]
	v_pk_fma_f32 v[106:107], v[52:53], s[54:55], v[28:29] op_sel_hi:[1,0,1] neg_lo:[0,0,1] neg_hi:[0,0,1]
	v_mov_b32_e32 v28, v104
	v_mov_b32_e32 v29, v107
	v_pk_add_f32 v[130:131], v[8:9], v[14:15] neg_lo:[0,1] neg_hi:[0,1]
	v_pk_add_f32 v[26:27], v[28:29], v[26:27]
	v_pk_add_f32 v[54:55], v[14:15], v[8:9]
	v_pk_mul_f32 v[28:29], v[130:131], s[16:17] op_sel:[1,0] op_sel_hi:[0,0]
	v_pk_fma_f32 v[118:119], v[54:55], s[48:49], v[28:29] op_sel_hi:[1,0,1]
	v_pk_fma_f32 v[120:121], v[54:55], s[48:49], v[28:29] op_sel_hi:[1,0,1] neg_lo:[0,0,1] neg_hi:[0,0,1]
	s_mov_b32 s34, 0xbeb8f4ab
	v_mov_b32_e32 v28, v118
	v_mov_b32_e32 v29, v121
	s_mov_b32 s35, 0x3f6eb680
	v_pk_add_f32 v[24:25], v[28:29], v[24:25]
	s_mov_b32 s58, s35
	v_pk_mul_f32 v[28:29], v[130:131], s[34:35] op_sel:[1,0] op_sel_hi:[0,0]
	v_pk_fma_f32 v[114:115], v[54:55], s[58:59], v[28:29] op_sel_hi:[1,0,1]
	v_pk_fma_f32 v[116:117], v[54:55], s[58:59], v[28:29] op_sel_hi:[1,0,1] neg_lo:[0,0,1] neg_hi:[0,0,1]
	v_mov_b32_e32 v28, v114
	v_mov_b32_e32 v29, v117
	s_mov_b32 s22, 0x3f65296c
	v_pk_add_f32 v[152:153], v[10:11], v[12:13] neg_lo:[0,1] neg_hi:[0,1]
	v_pk_add_f32 v[26:27], v[28:29], v[26:27]
	s_mov_b32 s56, s15
	v_pk_add_f32 v[68:69], v[12:13], v[10:11]
	v_pk_mul_f32 v[28:29], v[152:153], s[22:23] op_sel:[1,0] op_sel_hi:[0,0]
	v_pk_fma_f32 v[134:135], v[68:69], s[56:57], v[28:29] op_sel_hi:[1,0,1]
	v_pk_fma_f32 v[136:137], v[68:69], s[56:57], v[28:29] op_sel_hi:[1,0,1] neg_lo:[0,0,1] neg_hi:[0,0,1]
	v_mov_b32_e32 v28, v134
	v_mov_b32_e32 v29, v137
	v_pk_add_f32 v[24:25], v[28:29], v[24:25]
	s_mov_b32 s60, s7
	v_pk_mul_f32 v[28:29], v[152:153], s[6:7] op_sel:[1,0] op_sel_hi:[0,0]
	v_pk_fma_f32 v[122:123], v[68:69], s[60:61], v[28:29] op_sel_hi:[1,0,1]
	v_pk_fma_f32 v[124:125], v[68:69], s[60:61], v[28:29] op_sel_hi:[1,0,1] neg_lo:[0,0,1] neg_hi:[0,0,1]
	v_mov_b32_e32 v28, v122
	v_mov_b32_e32 v29, v125
	s_mov_b32 s28, 0x3eb8f4ab
	v_pk_add_f32 v[156:157], v[4:5], v[6:7] neg_lo:[0,1] neg_hi:[0,1]
	v_pk_add_f32 v[28:29], v[28:29], v[26:27]
	v_pk_add_f32 v[74:75], v[6:7], v[4:5]
	v_pk_mul_f32 v[26:27], v[156:157], s[28:29] op_sel:[1,0] op_sel_hi:[0,0]
	v_pk_fma_f32 v[154:155], v[74:75], s[58:59], v[26:27] op_sel_hi:[1,0,1]
	v_pk_fma_f32 v[158:159], v[74:75], s[58:59], v[26:27] op_sel_hi:[1,0,1] neg_lo:[0,0,1] neg_hi:[0,0,1]
	s_mov_b32 s26, 0xbf06c442
	v_mov_b32_e32 v26, v154
	v_mov_b32_e32 v27, v159
	v_pk_add_f32 v[26:27], v[26:27], v[24:25]
	v_pk_mul_f32 v[24:25], v[156:157], s[26:27] op_sel:[1,0] op_sel_hi:[0,0]
	v_pk_fma_f32 v[144:145], v[74:75], s[50:51], v[24:25] op_sel_hi:[1,0,1]
	v_pk_fma_f32 v[146:147], v[74:75], s[50:51], v[24:25] op_sel_hi:[1,0,1] neg_lo:[0,0,1] neg_hi:[0,0,1]
	v_mov_b32_e32 v24, v144
	v_mov_b32_e32 v25, v147
	s_mov_b32 s52, s19
	s_mov_b32 s53, s18
	v_pk_mul_f32 v[192:193], v[62:63], s[36:37]
	v_pk_add_f32 v[24:25], v[24:25], v[28:29]
	v_pk_fma_f32 v[190:191], v[40:41], s[6:7], v[192:193]
	v_pk_fma_f32 v[28:29], v[40:41], s[6:7], v[192:193] neg_lo:[0,0,1] neg_hi:[0,0,1]
	v_pk_mul_f32 v[196:197], v[76:77], s[52:53]
	v_mov_b32_e32 v28, v190
	v_pk_fma_f32 v[194:195], v[42:43], s[18:19], v[196:197]
	v_pk_fma_f32 v[30:31], v[42:43], s[18:19], v[196:197] neg_lo:[0,0,1] neg_hi:[0,0,1]
	v_pk_add_f32 v[28:29], v[28:29], v[0:1]
	v_mov_b32_e32 v30, v194
	v_pk_add_f32 v[28:29], v[30:31], v[28:29]
	v_pk_mul_f32 v[30:31], v[48:49], s[16:17] op_sel_hi:[1,0]
	s_mov_b32 s36, s21
	v_pk_fma_f32 v[198:199], v[46:47], s[48:49], v[30:31] op_sel:[0,0,1] op_sel_hi:[1,0,0]
	v_pk_fma_f32 v[148:149], v[46:47], s[48:49], v[30:31] op_sel:[0,0,1] op_sel_hi:[1,0,0] neg_lo:[0,0,1] neg_hi:[0,0,1]
	s_mov_b32 s37, s20
	v_mov_b32_e32 v30, v198
	v_mov_b32_e32 v31, v149
	s_mov_b32 s38, s31
	s_mov_b32 s39, s30
	v_pk_mul_f32 v[214:215], v[62:63], s[36:37]
	v_pk_add_f32 v[28:29], v[30:31], v[28:29]
	v_pk_fma_f32 v[210:211], v[40:41], s[20:21], v[214:215]
	v_pk_fma_f32 v[30:31], v[40:41], s[20:21], v[214:215] neg_lo:[0,0,1] neg_hi:[0,0,1]
	v_pk_mul_f32 v[212:213], v[76:77], s[38:39]
	v_mov_b32_e32 v30, v210
	v_pk_fma_f32 v[204:205], v[42:43], s[30:31], v[212:213]
	v_pk_fma_f32 v[56:57], v[42:43], s[30:31], v[212:213] neg_lo:[0,0,1] neg_hi:[0,0,1]
	v_pk_add_f32 v[30:31], v[30:31], v[0:1]
	v_mov_b32_e32 v56, v204
	v_pk_add_f32 v[30:31], v[56:57], v[30:31]
	v_pk_mul_f32 v[56:57], v[48:49], s[24:25] op_sel_hi:[1,0]
	s_mov_b32 s38, 0x3f7ee86f
	v_pk_fma_f32 v[202:203], v[46:47], s[54:55], v[56:57] op_sel:[0,0,1] op_sel_hi:[1,0,0]
	v_pk_fma_f32 v[150:151], v[46:47], s[54:55], v[56:57] op_sel:[0,0,1] op_sel_hi:[1,0,0] neg_lo:[0,0,1] neg_hi:[0,0,1]
	v_mov_b32_e32 v56, v202
	v_mov_b32_e32 v57, v151
	v_pk_add_f32 v[30:31], v[56:57], v[30:31]
	v_pk_mul_f32 v[56:57], v[126:127], s[28:29] op_sel:[1,0] op_sel_hi:[0,0]
	v_pk_fma_f32 v[200:201], v[50:51], s[58:59], v[56:57] op_sel_hi:[1,0,1]
	v_pk_fma_f32 v[164:165], v[50:51], s[58:59], v[56:57] op_sel_hi:[1,0,1] neg_lo:[0,0,1] neg_hi:[0,0,1]
	v_mov_b32_e32 v56, v200
	v_mov_b32_e32 v57, v165
	v_pk_add_f32 v[28:29], v[56:57], v[28:29]
	v_pk_mul_f32 v[56:57], v[126:127], s[14:15] op_sel:[1,0] op_sel_hi:[0,0]
	v_pk_fma_f32 v[216:217], v[50:51], s[56:57], v[56:57] op_sel_hi:[1,0,1]
	v_pk_fma_f32 v[160:161], v[50:51], s[56:57], v[56:57] op_sel_hi:[1,0,1] neg_lo:[0,0,1] neg_hi:[0,0,1]
	;; [unrolled: 6-line block ×6, first 2 shown]
	v_mov_b32_e32 v56, v168
	v_mov_b32_e32 v57, v171
	s_mov_b32 s42, 0x3f4c4adb
	v_pk_add_f32 v[30:31], v[56:57], v[30:31]
	v_pk_mul_f32 v[56:57], v[152:153], s[42:43] op_sel:[1,0] op_sel_hi:[0,0]
	v_pk_fma_f32 v[186:187], v[68:69], s[46:47], v[56:57] op_sel_hi:[1,0,1]
	v_pk_fma_f32 v[188:189], v[68:69], s[46:47], v[56:57] op_sel_hi:[1,0,1] neg_lo:[0,0,1] neg_hi:[0,0,1]
	v_mov_b32_e32 v56, v186
	v_mov_b32_e32 v57, v189
	v_pk_add_f32 v[28:29], v[56:57], v[28:29]
	v_pk_mul_f32 v[56:57], v[152:153], s[34:35] op_sel:[1,0] op_sel_hi:[0,0]
	v_pk_fma_f32 v[178:179], v[68:69], s[58:59], v[56:57] op_sel_hi:[1,0,1]
	v_pk_fma_f32 v[180:181], v[68:69], s[58:59], v[56:57] op_sel_hi:[1,0,1] neg_lo:[0,0,1] neg_hi:[0,0,1]
	v_mov_b32_e32 v56, v178
	v_mov_b32_e32 v57, v181
	;; [unrolled: 6-line block ×4, first 2 shown]
	s_mov_b32 s36, s35
	s_mov_b32 s37, s34
	v_pk_add_f32 v[28:29], v[28:29], v[132:133]
	v_pk_mul_f32 v[132:133], v[78:79], s[10:11] op_sel:[1,0] op_sel_hi:[0,0]
	v_pk_mul_f32 v[246:247], v[62:63], s[36:37]
	v_pk_fma_f32 v[206:207], v[84:85], s[54:55], v[132:133] op_sel_hi:[1,0,1]
	v_pk_fma_f32 v[208:209], v[84:85], s[54:55], v[132:133] op_sel_hi:[1,0,1] neg_lo:[0,0,1] neg_hi:[0,0,1]
	v_pk_fma_f32 v[244:245], v[40:41], s[34:35], v[246:247]
	v_pk_fma_f32 v[84:85], v[40:41], s[34:35], v[246:247] neg_lo:[0,0,1] neg_hi:[0,0,1]
	v_mov_b32_e32 v132, v206
	v_mov_b32_e32 v84, v244
	v_pk_add_f32 v[84:85], v[84:85], v[0:1]
	v_mov_b32_e32 v133, v209
	v_pk_add_f32 v[84:85], v[132:133], v[84:85]
	v_pk_mul_f32 v[132:133], v[48:49], s[14:15] op_sel_hi:[1,0]
	v_mul_lo_u16_e32 v56, 17, v248
	v_pk_fma_f32 v[218:219], v[46:47], s[56:57], v[132:133] op_sel:[0,0,1] op_sel_hi:[1,0,0]
	v_pk_fma_f32 v[220:221], v[46:47], s[56:57], v[132:133] op_sel:[0,0,1] op_sel_hi:[1,0,0] neg_lo:[0,0,1] neg_hi:[0,0,1]
	v_mov_b32_e32 v132, v218
	v_mov_b32_e32 v133, v221
	v_pk_add_f32 v[84:85], v[132:133], v[84:85]
	v_pk_mul_f32 v[132:133], v[126:127], s[6:7] op_sel:[1,0] op_sel_hi:[0,0]
	v_pk_fma_f32 v[224:225], v[50:51], s[60:61], v[132:133] op_sel_hi:[1,0,1]
	v_pk_fma_f32 v[226:227], v[50:51], s[60:61], v[132:133] op_sel_hi:[1,0,1] neg_lo:[0,0,1] neg_hi:[0,0,1]
	v_mov_b32_e32 v132, v224
	v_mov_b32_e32 v133, v227
	v_pk_add_f32 v[84:85], v[132:133], v[84:85]
	v_pk_mul_f32 v[132:133], v[128:129], s[20:21] op_sel:[1,0] op_sel_hi:[0,0]
	v_pk_fma_f32 v[228:229], v[52:53], s[48:49], v[132:133] op_sel_hi:[1,0,1]
	v_pk_fma_f32 v[230:231], v[52:53], s[48:49], v[132:133] op_sel_hi:[1,0,1] neg_lo:[0,0,1] neg_hi:[0,0,1]
	;; [unrolled: 6-line block ×5, first 2 shown]
	v_mov_b32_e32 v132, v240
	v_mov_b32_e32 v133, v243
	v_pk_add_f32 v[252:253], v[132:133], v[84:85]
	s_waitcnt lgkmcnt(0)
	; wave barrier
	s_and_saveexec_b64 s[36:37], vcc
	s_cbranch_execz .LBB0_7
; %bb.6:
	v_pk_add_f32 v[2:3], v[2:3], v[0:1]
	v_pk_mul_f32 v[254:255], v[40:41], s[14:15]
	v_pk_add_f32 v[2:3], v[32:33], v[2:3]
	v_mov_b32_e32 v82, v248
	v_pk_add_f32 v[2:3], v[34:35], v[2:3]
	v_pk_mul_f32 v[248:249], v[40:41], s[34:35]
	v_pk_add_f32 v[2:3], v[16:17], v[2:3]
	v_pk_add_f32 v[92:93], v[92:93], v[254:255] neg_lo:[0,1] neg_hi:[0,1]
	v_pk_add_f32 v[2:3], v[18:19], v[2:3]
	v_mov_b32_e32 v93, v95
	v_pk_add_f32 v[2:3], v[8:9], v[2:3]
	v_pk_add_f32 v[94:95], v[246:247], v[248:249] neg_lo:[0,1] neg_hi:[0,1]
	v_pk_add_f32 v[2:3], v[10:11], v[2:3]
	v_mov_b32_e32 v95, v245
	v_pk_add_f32 v[2:3], v[4:5], v[2:3]
	v_pk_add_f32 v[4:5], v[94:95], v[0:1]
	;; [unrolled: 1-line block ×3, first 2 shown]
	v_mov_b32_e32 v209, v207
	v_pk_add_f32 v[2:3], v[12:13], v[2:3]
	v_pk_add_f32 v[4:5], v[208:209], v[4:5]
	v_mov_b32_e32 v221, v219
	v_pk_add_f32 v[2:3], v[14:15], v[2:3]
	v_pk_add_f32 v[4:5], v[220:221], v[4:5]
	;; [unrolled: 3-line block ×3, first 2 shown]
	v_mov_b32_e32 v231, v229
	v_accvgpr_write_b32 a0, v252
	v_pk_add_f32 v[2:3], v[22:23], v[2:3]
	v_pk_add_f32 v[4:5], v[230:231], v[4:5]
	v_mov_b32_e32 v235, v233
	v_mov_b32_e32 v88, v250
	v_pk_mul_f32 v[250:251], v[40:41], s[10:11]
	v_accvgpr_write_b32 a1, v253
	v_pk_mul_f32 v[252:253], v[42:43], s[6:7]
	v_pk_add_f32 v[2:3], v[36:37], v[2:3]
	v_pk_add_f32 v[4:5], v[234:235], v[4:5]
	v_mov_b32_e32 v239, v237
	v_mov_b32_e32 v59, v71
	v_pk_mul_f32 v[70:71], v[42:43], s[0:1]
	v_pk_add_f32 v[66:67], v[66:67], v[250:251] neg_lo:[0,1] neg_hi:[0,1]
	v_pk_add_f32 v[72:73], v[72:73], v[252:253] neg_lo:[0,1] neg_hi:[0,1]
	v_pk_add_f32 v[2:3], v[38:39], v[2:3]
	v_pk_add_f32 v[4:5], v[238:239], v[4:5]
	v_mov_b32_e32 v243, v241
	v_pk_add_f32 v[70:71], v[98:99], v[70:71] neg_lo:[0,1] neg_hi:[0,1]
	v_mov_b32_e32 v67, v65
	v_mov_b32_e32 v73, v59
	v_lshlrev_b32_e32 v59, 3, v56
	v_pk_add_f32 v[2:3], v[44:45], v[2:3]
	v_pk_add_f32 v[4:5], v[242:243], v[4:5]
	v_mov_b32_e32 v71, v97
	ds_write2_b64 v59, v[2:3], v[4:5] offset1:1
	v_pk_add_f32 v[2:3], v[66:67], v[0:1]
	v_pk_add_f32 v[4:5], v[92:93], v[0:1]
	v_mov_b32_e32 v81, v109
	v_pk_add_f32 v[2:3], v[72:73], v[2:3]
	v_mov_b32_e32 v87, v83
	;; [unrolled: 2-line block ×3, first 2 shown]
	v_mov_b32_e32 v143, v126
	v_pk_mul_f32 v[126:127], v[40:41], s[20:21]
	v_pk_add_f32 v[2:3], v[86:87], v[2:3]
	v_mov_b32_e32 v103, v101
	v_pk_add_f32 v[4:5], v[80:81], v[4:5]
	v_mov_b32_e32 v91, v89
	v_pk_add_f32 v[214:215], v[214:215], v[126:127] neg_lo:[0,1] neg_hi:[0,1]
	v_pk_mul_f32 v[126:127], v[42:43], s[30:31]
	s_mov_b32 s44, s31
	s_mov_b32 s45, s26
	v_pk_add_f32 v[2:3], v[102:103], v[2:3]
	v_mov_b32_e32 v113, v111
	v_pk_add_f32 v[4:5], v[90:91], v[4:5]
	v_mov_b32_e32 v107, v105
	v_mov_b32_e32 v215, v211
	v_pk_add_f32 v[210:211], v[212:213], v[126:127] neg_lo:[0,1] neg_hi:[0,1]
	v_pk_mul_f32 v[126:127], v[62:63], s[44:45]
	s_mov_b32 s44, s15
	s_mov_b32 s45, s22
	v_pk_add_f32 v[2:3], v[112:113], v[2:3]
	v_mov_b32_e32 v121, v119
	v_pk_add_f32 v[4:5], v[106:107], v[4:5]
	v_mov_b32_e32 v117, v115
	v_mov_b32_e32 v140, v129
	;; [unrolled: 1-line block ×3, first 2 shown]
	v_pk_mul_f32 v[84:85], v[40:41], s[6:7]
	v_mov_b32_e32 v64, v79
	v_pk_mul_f32 v[128:129], v[76:77], s[44:45]
	s_mov_b32 s44, s35
	s_mov_b32 s45, s28
	v_pk_mul_f32 v[78:79], v[62:63], s[40:41]
	s_mov_b32 s40, s21
	s_mov_b32 s41, s16
	v_pk_add_f32 v[2:3], v[120:121], v[2:3]
	v_mov_b32_e32 v137, v135
	v_pk_add_f32 v[4:5], v[116:117], v[4:5]
	v_mov_b32_e32 v125, v123
	v_mov_b32_e32 v138, v131
	;; [unrolled: 1-line block ×7, first 2 shown]
	v_pk_mul_f32 v[212:213], v[42:43], s[18:19]
	v_pk_mul_f32 v[152:153], v[62:63], s[52:53]
	;; [unrolled: 1-line block ×4, first 2 shown]
	v_pk_add_f32 v[76:77], v[192:193], v[84:85] neg_lo:[0,1] neg_hi:[0,1]
	v_pk_add_f32 v[2:3], v[136:137], v[2:3]
	v_mov_b32_e32 v159, v155
	v_pk_add_f32 v[4:5], v[124:125], v[4:5]
	v_mov_b32_e32 v147, v145
	v_mov_b32_e32 v77, v191
	v_pk_add_f32 v[84:85], v[196:197], v[212:213] neg_lo:[0,1] neg_hi:[0,1]
	v_pk_add_f32 v[2:3], v[158:159], v[2:3]
	v_pk_add_f32 v[4:5], v[146:147], v[4:5]
	v_mov_b32_e32 v211, v205
	v_mov_b32_e32 v85, v195
	ds_write2_b64 v59, v[2:3], v[4:5] offset0:2 offset1:3
	v_pk_add_f32 v[2:3], v[76:77], v[0:1]
	v_pk_add_f32 v[4:5], v[214:215], v[0:1]
	v_mov_b32_e32 v151, v203
	v_mov_b32_e32 v149, v199
	v_pk_add_f32 v[2:3], v[84:85], v[2:3]
	v_pk_add_f32 v[4:5], v[210:211], v[4:5]
	v_mov_b32_e32 v161, v217
	v_mov_b32_e32 v165, v201
	v_pk_add_f32 v[2:3], v[148:149], v[2:3]
	v_pk_add_f32 v[4:5], v[150:151], v[4:5]
	v_mov_b32_e32 v163, v223
	v_pk_add_f32 v[2:3], v[164:165], v[2:3]
	v_mov_b32_e32 v173, v167
	v_pk_add_f32 v[4:5], v[160:161], v[4:5]
	v_pk_add_f32 v[2:3], v[172:173], v[2:3]
	v_mov_b32_e32 v177, v175
	v_pk_add_f32 v[4:5], v[162:163], v[4:5]
	v_mov_b32_e32 v171, v169
	;; [unrolled: 2-line block ×6, first 2 shown]
	v_pk_add_f32 v[2:3], v[60:61], v[2:3]
	v_pk_add_f32 v[4:5], v[184:185], v[4:5]
	s_mov_b32 s17, s21
	ds_write2_b64 v59, v[2:3], v[4:5] offset0:4 offset1:5
	v_pk_fma_f32 v[2:3], v[40:41], s[0:1], v[78:79] neg_lo:[1,0,0] neg_hi:[1,0,0]
	v_pk_fma_f32 v[4:5], v[40:41], s[0:1], v[78:79]
	v_pk_fma_f32 v[6:7], v[64:65], s[16:17], v[62:63] neg_lo:[1,0,0] neg_hi:[1,0,0]
	v_mov_b32_e32 v3, v5
	v_pk_fma_f32 v[8:9], v[42:43], s[16:17], v[62:63]
	v_pk_add_f32 v[2:3], v[2:3], v[0:1]
	v_mov_b32_e32 v7, v9
	v_pk_add_f32 v[2:3], v[6:7], v[2:3]
	v_pk_mul_f32 v[6:7], v[48:49], s[34:35] op_sel_hi:[1,0]
	s_mov_b32 s27, s31
	v_pk_fma_f32 v[10:11], v[46:47], s[44:45], v[6:7] op_sel:[0,0,1] op_sel_hi:[1,0,0] neg_lo:[0,0,1] neg_hi:[0,0,1]
	v_pk_fma_f32 v[6:7], v[46:47], s[44:45], v[6:7] op_sel:[0,0,1] op_sel_hi:[1,0,0]
	v_mov_b32_e32 v12, v10
	v_mov_b32_e32 v13, v7
	v_pk_add_f32 v[2:3], v[12:13], v[2:3]
	s_mov_b32 s30, s31
	v_pk_mul_f32 v[12:13], v[142:143], s[26:27] op_sel_hi:[1,0]
	s_mov_b32 s14, s7
	v_pk_fma_f32 v[14:15], v[50:51], s[30:31], v[12:13] op_sel_hi:[1,0,1] neg_lo:[0,0,1] neg_hi:[0,0,1]
	v_pk_fma_f32 v[12:13], v[50:51], s[30:31], v[12:13] op_sel_hi:[1,0,1]
	v_mov_b32_e32 v16, v14
	v_mov_b32_e32 v17, v13
	v_pk_add_f32 v[2:3], v[16:17], v[2:3]
	v_pk_mul_f32 v[16:17], v[140:141], s[38:39] op_sel_hi:[1,0]
	s_mov_b32 s40, s11
	v_pk_fma_f32 v[18:19], v[52:53], s[14:15], v[16:17] op_sel_hi:[1,0,1] neg_lo:[0,0,1] neg_hi:[0,0,1]
	v_pk_fma_f32 v[16:17], v[52:53], s[14:15], v[16:17] op_sel_hi:[1,0,1]
	v_mov_b32_e32 v20, v18
	v_mov_b32_e32 v21, v17
	v_pk_add_f32 v[2:3], v[20:21], v[2:3]
	;; [unrolled: 7-line block ×4, first 2 shown]
	s_mov_b32 s10, s15
	v_pk_mul_f32 v[36:37], v[130:131], s[22:23] op_sel_hi:[1,0]
	v_mov_b32_e32 v248, v82
	v_pk_fma_f32 v[38:39], v[74:75], s[10:11], v[36:37] op_sel_hi:[1,0,1] neg_lo:[0,0,1] neg_hi:[0,0,1]
	v_pk_fma_f32 v[36:37], v[74:75], s[10:11], v[36:37] op_sel_hi:[1,0,1]
	v_pk_fma_f32 v[80:81], v[40:41], s[26:27], v[126:127] neg_lo:[1,0,0] neg_hi:[1,0,0]
	v_pk_fma_f32 v[82:83], v[40:41], s[26:27], v[126:127]
	v_mov_b32_e32 v44, v38
	v_mov_b32_e32 v45, v37
	;; [unrolled: 1-line block ×3, first 2 shown]
	v_pk_fma_f32 v[84:85], v[64:65], s[22:23], v[128:129] neg_lo:[1,0,0] neg_hi:[1,0,0]
	v_pk_fma_f32 v[86:87], v[42:43], s[22:23], v[128:129]
	v_pk_add_f32 v[2:3], v[44:45], v[2:3]
	v_pk_mul_f32 v[44:45], v[48:49], s[6:7] op_sel_hi:[1,0]
	v_pk_add_f32 v[80:81], v[80:81], v[0:1]
	v_mov_b32_e32 v85, v87
	v_pk_add_f32 v[80:81], v[84:85], v[80:81]
	v_pk_fma_f32 v[84:85], v[46:47], s[14:15], v[44:45] op_sel:[0,0,1] op_sel_hi:[1,0,0] neg_lo:[0,0,1] neg_hi:[0,0,1]
	v_pk_fma_f32 v[44:45], v[46:47], s[14:15], v[44:45] op_sel:[0,0,1] op_sel_hi:[1,0,0]
	v_mov_b32_e32 v250, v88
	s_mov_b32 s6, s1
	v_pk_mul_f32 v[60:61], v[142:143], s[42:43] op_sel_hi:[1,0]
	v_mov_b32_e32 v88, v84
	v_mov_b32_e32 v89, v45
	v_pk_add_f32 v[80:81], v[88:89], v[80:81]
	v_pk_fma_f32 v[88:89], v[50:51], s[6:7], v[60:61] op_sel_hi:[1,0,1] neg_lo:[0,0,1] neg_hi:[0,0,1]
	v_pk_fma_f32 v[60:61], v[50:51], s[6:7], v[60:61] op_sel_hi:[1,0,1]
	v_pk_mul_f32 v[66:67], v[140:141], s[34:35] op_sel_hi:[1,0]
	v_mov_b32_e32 v90, v88
	v_mov_b32_e32 v91, v61
	v_pk_add_f32 v[80:81], v[90:91], v[80:81]
	v_pk_fma_f32 v[90:91], v[52:53], s[44:45], v[66:67] op_sel_hi:[1,0,1] neg_lo:[0,0,1] neg_hi:[0,0,1]
	v_pk_fma_f32 v[66:67], v[52:53], s[44:45], v[66:67] op_sel_hi:[1,0,1]
	;; [unrolled: 6-line block ×4, first 2 shown]
	s_mov_b32 s34, s21
	v_pk_mul_f32 v[76:77], v[130:131], s[20:21] op_sel_hi:[1,0]
	v_mov_b32_e32 v96, v94
	v_mov_b32_e32 v97, v73
	v_pk_add_f32 v[80:81], v[96:97], v[80:81]
	v_pk_fma_f32 v[96:97], v[74:75], s[34:35], v[76:77] op_sel_hi:[1,0,1] neg_lo:[0,0,1] neg_hi:[0,0,1]
	v_pk_fma_f32 v[76:77], v[74:75], s[34:35], v[76:77] op_sel_hi:[1,0,1]
	v_mov_b32_e32 v98, v96
	v_mov_b32_e32 v99, v77
	v_pk_add_f32 v[80:81], v[98:99], v[80:81]
	s_mov_b32 s29, s35
	ds_write2_b64 v59, v[2:3], v[80:81] offset0:6 offset1:7
	v_pk_fma_f32 v[2:3], v[40:41], s[18:19], v[152:153] neg_lo:[1,0,0] neg_hi:[1,0,0]
	v_pk_fma_f32 v[80:81], v[40:41], s[18:19], v[152:153]
	v_pk_fma_f32 v[64:65], v[64:65], s[28:29], v[156:157] neg_lo:[1,0,0] neg_hi:[1,0,0]
	v_mov_b32_e32 v3, v81
	v_pk_fma_f32 v[98:99], v[42:43], s[28:29], v[156:157]
	v_pk_add_f32 v[2:3], v[2:3], v[0:1]
	v_mov_b32_e32 v65, v99
	v_pk_mul_f32 v[48:49], v[48:49], s[26:27] op_sel_hi:[1,0]
	v_pk_add_f32 v[2:3], v[64:65], v[2:3]
	v_pk_fma_f32 v[64:65], v[46:47], s[30:31], v[48:49] op_sel:[0,0,1] op_sel_hi:[1,0,0] neg_lo:[0,0,1] neg_hi:[0,0,1]
	v_pk_fma_f32 v[46:47], v[46:47], s[30:31], v[48:49] op_sel:[0,0,1] op_sel_hi:[1,0,0]
	v_mov_b32_e32 v48, v64
	v_mov_b32_e32 v49, v47
	v_pk_add_f32 v[2:3], v[48:49], v[2:3]
	v_pk_mul_f32 v[48:49], v[142:143], s[24:25] op_sel_hi:[1,0]
	v_mov_b32_e32 v47, v65
	v_pk_fma_f32 v[100:101], v[50:51], s[40:41], v[48:49] op_sel_hi:[1,0,1] neg_lo:[0,0,1] neg_hi:[0,0,1]
	v_pk_fma_f32 v[48:49], v[50:51], s[40:41], v[48:49] op_sel_hi:[1,0,1]
	v_mov_b32_e32 v50, v100
	v_mov_b32_e32 v51, v49
	v_pk_add_f32 v[2:3], v[50:51], v[2:3]
	v_pk_mul_f32 v[50:51], v[140:141], s[0:1] op_sel_hi:[1,0]
	v_mov_b32_e32 v49, v101
	v_pk_fma_f32 v[102:103], v[52:53], s[6:7], v[50:51] op_sel_hi:[1,0,1] neg_lo:[0,0,1] neg_hi:[0,0,1]
	v_pk_fma_f32 v[50:51], v[52:53], s[6:7], v[50:51] op_sel_hi:[1,0,1]
	;; [unrolled: 7-line block ×5, first 2 shown]
	v_mov_b32_e32 v74, v108
	v_mov_b32_e32 v75, v69
	v_pk_add_f32 v[2:3], v[74:75], v[2:3]
	v_pk_fma_f32 v[74:75], v[40:41], s[18:19], v[152:153] neg_lo:[0,0,1] neg_hi:[0,0,1]
	v_mov_b32_e32 v69, v109
	v_mov_b32_e32 v81, v75
	v_pk_add_f32 v[74:75], v[80:81], v[0:1]
	v_pk_fma_f32 v[80:81], v[42:43], s[28:29], v[156:157] neg_lo:[0,0,1] neg_hi:[0,0,1]
	v_mov_b32_e32 v45, v85
	v_mov_b32_e32 v99, v81
	v_pk_add_f32 v[74:75], v[98:99], v[74:75]
	v_mov_b32_e32 v7, v11
	v_pk_add_f32 v[46:47], v[46:47], v[74:75]
	;; [unrolled: 2-line block ×7, first 2 shown]
	ds_write2_b64 v59, v[2:3], v[46:47] offset0:8 offset1:9
	v_pk_fma_f32 v[2:3], v[40:41], s[26:27], v[126:127] neg_lo:[0,0,1] neg_hi:[0,0,1]
	v_pk_fma_f32 v[40:41], v[40:41], s[0:1], v[78:79] neg_lo:[0,0,1] neg_hi:[0,0,1]
	v_mov_b32_e32 v83, v3
	v_mov_b32_e32 v5, v41
	v_pk_add_f32 v[2:3], v[82:83], v[0:1]
	v_pk_fma_f32 v[46:47], v[42:43], s[22:23], v[128:129] neg_lo:[0,0,1] neg_hi:[0,0,1]
	v_pk_add_f32 v[0:1], v[4:5], v[0:1]
	v_pk_fma_f32 v[4:5], v[42:43], s[16:17], v[62:63] neg_lo:[0,0,1] neg_hi:[0,0,1]
	v_mov_b32_e32 v87, v47
	v_mov_b32_e32 v9, v5
	v_pk_add_f32 v[2:3], v[86:87], v[2:3]
	v_pk_add_f32 v[0:1], v[8:9], v[0:1]
	v_pk_add_f32 v[2:3], v[44:45], v[2:3]
	v_pk_add_f32 v[0:1], v[6:7], v[0:1]
	v_pk_add_f32 v[2:3], v[60:61], v[2:3]
	v_pk_add_f32 v[0:1], v[12:13], v[0:1]
	v_pk_add_f32 v[2:3], v[66:67], v[2:3]
	v_pk_add_f32 v[0:1], v[16:17], v[0:1]
	v_mov_b32_e32 v21, v23
	v_pk_add_f32 v[2:3], v[70:71], v[2:3]
	v_mov_b32_e32 v73, v95
	v_pk_add_f32 v[0:1], v[20:21], v[0:1]
	v_mov_b32_e32 v33, v35
	v_accvgpr_read_b32 v253, a1
	v_pk_add_f32 v[2:3], v[72:73], v[2:3]
	v_mov_b32_e32 v77, v97
	v_pk_add_f32 v[0:1], v[32:33], v[0:1]
	v_mov_b32_e32 v37, v39
	v_accvgpr_read_b32 v252, a0
	v_pk_add_f32 v[2:3], v[76:77], v[2:3]
	v_pk_add_f32 v[0:1], v[36:37], v[0:1]
	ds_write2_b64 v59, v[2:3], v[0:1] offset0:10 offset1:11
	ds_write2_b64 v59, v[28:29], v[30:31] offset0:12 offset1:13
	;; [unrolled: 1-line block ×3, first 2 shown]
	ds_write_b64 v59, a[0:1] offset:128
.LBB0_7:
	s_or_b64 exec, exec, s[36:37]
	s_movk_i32 s0, 0xf1
	v_mul_lo_u16_sdwa v0, v248, s0 dst_sel:DWORD dst_unused:UNUSED_PAD src0_sel:BYTE_0 src1_sel:DWORD
	v_lshrrev_b16_e32 v48, 12, v0
	v_mul_lo_u16_e32 v0, 17, v48
	v_sub_u16_e32 v49, v248, v0
	v_add_u16_e32 v0, 0x66, v248
	v_mul_lo_u16_sdwa v1, v0, s0 dst_sel:DWORD dst_unused:UNUSED_PAD src0_sel:BYTE_0 src1_sel:DWORD
	v_lshrrev_b16_e32 v36, 12, v1
	v_mul_lo_u16_e32 v1, 17, v36
	v_sub_u16_e32 v0, v0, v1
	v_add_u16_e32 v1, 0x99, v248
	v_mul_lo_u16_sdwa v2, v1, s0 dst_sel:DWORD dst_unused:UNUSED_PAD src0_sel:BYTE_0 src1_sel:DWORD
	v_lshrrev_b16_e32 v37, 12, v2
	v_mul_lo_u16_e32 v2, 17, v37
	v_sub_u16_e32 v1, v1, v2
	v_and_b32_e32 v50, 0xff, v0
	v_and_b32_e32 v51, 0xff, v1
	v_lshlrev_b32_e32 v0, 4, v50
	v_lshlrev_b32_e32 v1, 4, v51
	s_load_dwordx4 s[4:7], s[4:5], 0x0
	s_waitcnt lgkmcnt(0)
	; wave barrier
	s_waitcnt lgkmcnt(0)
	global_load_dwordx4 v[8:11], v0, s[2:3]
	global_load_dwordx4 v[16:19], v1, s[2:3]
	v_add_u16_e32 v1, 51, v248
	v_mul_lo_u16_sdwa v2, v1, s0 dst_sel:DWORD dst_unused:UNUSED_PAD src0_sel:BYTE_0 src1_sel:DWORD
	v_lshrrev_b16_e32 v38, 12, v2
	v_mul_lo_u16_e32 v2, 17, v38
	v_lshlrev_b16_e32 v0, 1, v49
	v_sub_u16_e32 v1, v1, v2
	v_and_b32_e32 v0, 0xfe, v0
	v_and_b32_e32 v52, 0xff, v1
	v_lshlrev_b32_e32 v1, 4, v52
	v_lshlrev_b32_e32 v0, 3, v0
	global_load_dwordx4 v[4:7], v1, s[2:3]
	v_mov_b32_e32 v53, 3
	global_load_dwordx4 v[0:3], v0, s[2:3]
	v_lshlrev_b32_sdwa v111, v53, v248 dst_sel:DWORD dst_unused:UNUSED_PAD src0_sel:DWORD src1_sel:WORD_0
	v_add_u32_e32 v57, 0x800, v111
	ds_read2_b64 v[12:15], v111 offset0:102 offset1:153
	v_add_u32_e32 v67, 0xc00, v111
	ds_read2_b64 v[20:23], v111 offset1:51
	ds_read2_b64 v[32:35], v111 offset0:204 offset1:255
	v_mul_u32_u24_e32 v54, 51, v38
	v_mul_u32_u24_e32 v55, 51, v36
	;; [unrolled: 1-line block ×3, first 2 shown]
	ds_read2_b64 v[36:39], v57 offset0:50 offset1:101
	ds_read2_b64 v[40:43], v67 offset0:126 offset1:177
	;; [unrolled: 1-line block ×3, first 2 shown]
	v_mad_legacy_u16 v48, v48, 51, v49
	v_lshlrev_b32_sdwa v152, v53, v48 dst_sel:DWORD dst_unused:UNUSED_PAD src0_sel:DWORD src1_sel:BYTE_0
	v_add_lshl_u32 v150, v55, v50, 3
	v_add_lshl_u32 v151, v54, v52, 3
	;; [unrolled: 1-line block ×3, first 2 shown]
	s_mov_b32 s0, 0x3f5db3d7
	s_mov_b32 s1, 0xbf5db3d7
	s_waitcnt lgkmcnt(0)
	; wave barrier
	s_waitcnt lgkmcnt(0)
	s_movk_i32 s14, 0x1000
	v_mov_b32_e32 v59, 0
	v_lshlrev_b32_e32 v110, 3, v248
	s_waitcnt vmcnt(3)
	v_pk_mul_f32 v[52:53], v[36:37], v[8:9] op_sel:[0,1]
	s_waitcnt vmcnt(2)
	v_pk_mul_f32 v[48:49], v[38:39], v[16:17] op_sel:[0,1]
	v_mov_b32_e32 v50, v19
	v_mov_b32_e32 v54, v11
	v_pk_fma_f32 v[60:61], v[38:39], v[16:17], v[48:49] op_sel:[0,0,1] op_sel_hi:[1,1,0] neg_lo:[0,0,1] neg_hi:[0,0,1]
	v_pk_fma_f32 v[38:39], v[38:39], v[16:17], v[48:49] op_sel:[0,0,1] op_sel_hi:[1,0,0]
	v_pk_mul_f32 v[48:49], v[42:43], v[50:51] op_sel_hi:[1,0]
	v_pk_fma_f32 v[50:51], v[36:37], v[8:9], v[52:53] op_sel:[0,0,1] op_sel_hi:[1,1,0] neg_lo:[0,0,1] neg_hi:[0,0,1]
	v_pk_fma_f32 v[36:37], v[36:37], v[8:9], v[52:53] op_sel:[0,0,1] op_sel_hi:[1,0,0]
	v_pk_mul_f32 v[52:53], v[40:41], v[54:55] op_sel_hi:[1,0]
	v_mov_b32_e32 v61, v39
	v_pk_fma_f32 v[64:65], v[42:43], v[18:19], v[48:49] op_sel:[0,0,1] op_sel_hi:[1,1,0] neg_lo:[0,0,1] neg_hi:[0,0,1]
	s_waitcnt vmcnt(1)
	v_pk_mul_f32 v[54:55], v[34:35], v[4:5] op_sel:[0,1]
	v_pk_fma_f32 v[42:43], v[42:43], v[18:19], v[48:49] op_sel:[0,0,1] op_sel_hi:[1,0,0]
	s_waitcnt vmcnt(0)
	v_pk_mul_f32 v[62:63], v[32:33], v[0:1] op_sel:[0,1]
	v_mov_b32_e32 v38, v3
	v_pk_fma_f32 v[48:49], v[40:41], v[10:11], v[52:53] op_sel:[0,0,1] op_sel_hi:[1,1,0] neg_lo:[0,0,1] neg_hi:[0,0,1]
	v_pk_fma_f32 v[40:41], v[40:41], v[10:11], v[52:53] op_sel:[0,0,1] op_sel_hi:[1,0,0]
	v_pk_fma_f32 v[52:53], v[34:35], v[4:5], v[54:55] op_sel:[0,0,1] op_sel_hi:[1,1,0] neg_lo:[0,0,1] neg_hi:[0,0,1]
	v_pk_fma_f32 v[34:35], v[34:35], v[4:5], v[54:55] op_sel:[0,0,1] op_sel_hi:[1,0,0]
	;; [unrolled: 2-line block ×3, first 2 shown]
	v_pk_mul_f32 v[38:39], v[44:45], v[38:39] op_sel_hi:[1,0]
	v_mov_b32_e32 v65, v43
	v_pk_add_f32 v[42:43], v[14:15], v[60:61]
	v_mov_b32_e32 v55, v33
	v_pk_add_f32 v[32:33], v[42:43], v[64:65]
	v_pk_fma_f32 v[42:43], v[44:45], v[2:3], v[38:39] op_sel:[0,0,1] op_sel_hi:[1,1,0] neg_lo:[0,0,1] neg_hi:[0,0,1]
	v_pk_fma_f32 v[38:39], v[44:45], v[2:3], v[38:39] op_sel:[0,0,1] op_sel_hi:[1,0,0]
	v_mov_b32_e32 v36, v7
	v_mov_b32_e32 v43, v39
	v_pk_add_f32 v[38:39], v[20:21], v[54:55]
	v_pk_add_f32 v[44:45], v[54:55], v[42:43]
	;; [unrolled: 1-line block ×3, first 2 shown]
	v_pk_add_f32 v[42:43], v[54:55], v[42:43] neg_lo:[0,1] neg_hi:[0,1]
	v_mov_b32_e32 v51, v37
	v_pk_mul_f32 v[36:37], v[46:47], v[36:37] op_sel_hi:[1,0]
	v_pk_fma_f32 v[20:21], v[44:45], 0.5, v[20:21] op_sel_hi:[1,0,1] neg_lo:[1,0,0] neg_hi:[1,0,0]
	v_pk_mul_f32 v[42:43], v[42:43], s[0:1] op_sel_hi:[1,0]
	v_mov_b32_e32 v53, v35
	v_pk_fma_f32 v[34:35], v[46:47], v[6:7], v[36:37] op_sel:[0,0,1] op_sel_hi:[1,1,0] neg_lo:[0,0,1] neg_hi:[0,0,1]
	v_pk_fma_f32 v[36:37], v[46:47], v[6:7], v[36:37] op_sel:[0,0,1] op_sel_hi:[1,0,0]
	v_pk_add_f32 v[44:45], v[20:21], v[42:43] op_sel:[0,1] op_sel_hi:[1,0]
	v_pk_add_f32 v[20:21], v[20:21], v[42:43] op_sel:[0,1] op_sel_hi:[1,0] neg_lo:[0,1] neg_hi:[0,1]
	v_mov_b32_e32 v35, v37
	v_mov_b32_e32 v43, v21
	;; [unrolled: 1-line block ×3, first 2 shown]
	ds_write_b64 v152, v[20:21] offset:272
	v_pk_add_f32 v[20:21], v[52:53], v[34:35]
	v_pk_add_f32 v[36:37], v[22:23], v[52:53]
	v_pk_fma_f32 v[20:21], v[20:21], 0.5, v[22:23] op_sel_hi:[1,0,1] neg_lo:[1,0,0] neg_hi:[1,0,0]
	v_pk_add_f32 v[22:23], v[52:53], v[34:35] neg_lo:[0,1] neg_hi:[0,1]
	v_pk_add_f32 v[36:37], v[36:37], v[34:35]
	v_pk_mul_f32 v[22:23], v[22:23], s[0:1] op_sel_hi:[1,0]
	v_mov_b32_e32 v49, v41
	v_pk_add_f32 v[34:35], v[20:21], v[22:23] op_sel:[0,1] op_sel_hi:[1,0]
	v_pk_add_f32 v[20:21], v[20:21], v[22:23] op_sel:[0,1] op_sel_hi:[1,0] neg_lo:[0,1] neg_hi:[0,1]
	v_mov_b32_e32 v42, v44
	v_mov_b32_e32 v23, v21
	;; [unrolled: 1-line block ×3, first 2 shown]
	ds_write2_b64 v152, v[38:39], v[42:43] offset1:17
	ds_write_b64 v151, v[20:21] offset:272
	v_pk_add_f32 v[20:21], v[50:51], v[48:49]
	v_pk_add_f32 v[40:41], v[12:13], v[50:51]
	v_pk_fma_f32 v[12:13], v[20:21], 0.5, v[12:13] op_sel_hi:[1,0,1] neg_lo:[1,0,0] neg_hi:[1,0,0]
	v_pk_add_f32 v[20:21], v[50:51], v[48:49] neg_lo:[0,1] neg_hi:[0,1]
	v_mov_b32_e32 v22, v34
	v_pk_mul_f32 v[20:21], v[20:21], s[0:1] op_sel_hi:[1,0]
	ds_write2_b64 v151, v[36:37], v[22:23] offset1:17
	v_pk_add_f32 v[22:23], v[12:13], v[20:21] op_sel:[0,1] op_sel_hi:[1,0]
	v_pk_add_f32 v[12:13], v[12:13], v[20:21] op_sel:[0,1] op_sel_hi:[1,0] neg_lo:[0,1] neg_hi:[0,1]
	v_pk_add_f32 v[40:41], v[40:41], v[48:49]
	v_mov_b32_e32 v21, v13
	v_mov_b32_e32 v13, v23
	ds_write_b64 v150, v[12:13] offset:272
	v_pk_add_f32 v[12:13], v[60:61], v[64:65]
	v_mov_b32_e32 v20, v22
	v_pk_fma_f32 v[12:13], v[12:13], 0.5, v[14:15] op_sel_hi:[1,0,1] neg_lo:[1,0,0] neg_hi:[1,0,0]
	v_pk_add_f32 v[14:15], v[60:61], v[64:65] neg_lo:[0,1] neg_hi:[0,1]
	ds_write2_b64 v150, v[40:41], v[20:21] offset1:17
	v_pk_mul_f32 v[14:15], v[14:15], s[0:1] op_sel_hi:[1,0]
	v_mad_u64_u32 v[60:61], s[2:3], v248, 40, s[2:3]
	v_pk_add_f32 v[20:21], v[12:13], v[14:15] op_sel:[0,1] op_sel_hi:[1,0]
	v_pk_add_f32 v[12:13], v[12:13], v[14:15] op_sel:[0,1] op_sel_hi:[1,0] neg_lo:[0,1] neg_hi:[0,1]
	v_mov_b32_e32 v14, v20
	v_mov_b32_e32 v15, v13
	;; [unrolled: 1-line block ×3, first 2 shown]
	ds_write2_b64 v119, v[32:33], v[14:15] offset1:17
	ds_write_b64 v119, v[12:13] offset:272
	s_waitcnt lgkmcnt(0)
	; wave barrier
	s_waitcnt lgkmcnt(0)
	global_load_dwordx4 v[12:15], v[60:61], off offset:288
	global_load_dwordx4 v[20:23], v[60:61], off offset:272
	global_load_dwordx2 v[62:63], v[60:61], off offset:304
	ds_read2_b64 v[32:35], v111 offset1:51
	ds_read2_b64 v[36:39], v111 offset0:102 offset1:153
	ds_read2_b64 v[40:43], v111 offset0:204 offset1:255
	;; [unrolled: 1-line block ×5, first 2 shown]
	s_waitcnt lgkmcnt(0)
	; wave barrier
	s_waitcnt vmcnt(2) lgkmcnt(0)
	v_mov_b32_e32 v68, v15
	s_waitcnt vmcnt(1)
	v_mov_b32_e32 v70, v23
	v_mov_b32_e32 v66, v21
	v_pk_mul_f32 v[72:73], v[38:39], v[20:21] op_sel_hi:[1,0]
	v_mov_b32_e32 v154, v13
	v_pk_mul_f32 v[74:75], v[46:47], v[12:13] op_sel_hi:[1,0]
	v_pk_fma_f32 v[78:79], v[38:39], v[66:67], v[72:73] op_sel:[0,0,1] op_sel_hi:[1,1,0]
	v_pk_fma_f32 v[38:39], v[38:39], v[20:21], v[72:73] op_sel:[0,1,1] op_sel_hi:[1,1,0] neg_lo:[1,0,0] neg_hi:[1,0,0]
	v_pk_mul_f32 v[72:73], v[42:43], v[70:71] op_sel_hi:[1,0]
	v_pk_fma_f32 v[80:81], v[46:47], v[154:155], v[74:75] op_sel:[0,0,1] op_sel_hi:[1,1,0]
	v_pk_fma_f32 v[46:47], v[46:47], v[12:13], v[74:75] op_sel:[0,1,1] op_sel_hi:[1,1,0] neg_lo:[1,0,0] neg_hi:[1,0,0]
	v_pk_mul_f32 v[74:75], v[50:51], v[68:69] op_sel_hi:[1,0]
	v_mov_b32_e32 v79, v39
	v_pk_fma_f32 v[38:39], v[42:43], v[22:23], v[72:73] op_sel:[0,0,1] op_sel_hi:[1,1,0] neg_lo:[0,0,1] neg_hi:[0,0,1]
	v_pk_fma_f32 v[42:43], v[42:43], v[22:23], v[72:73] op_sel:[0,0,1] op_sel_hi:[1,0,0]
	s_waitcnt vmcnt(0)
	v_pk_mul_f32 v[76:77], v[54:55], v[62:63] op_sel_hi:[1,0]
	v_mov_b32_e32 v81, v47
	v_pk_fma_f32 v[46:47], v[50:51], v[14:15], v[74:75] op_sel:[0,0,1] op_sel_hi:[1,1,0] neg_lo:[0,0,1] neg_hi:[0,0,1]
	v_pk_fma_f32 v[50:51], v[50:51], v[14:15], v[74:75] op_sel:[0,0,1] op_sel_hi:[1,0,0]
	v_mov_b32_e32 v42, v63
	v_mov_b32_e32 v39, v43
	;; [unrolled: 1-line block ×3, first 2 shown]
	v_pk_fma_f32 v[42:43], v[54:55], v[42:43], v[76:77] op_sel:[0,0,1] op_sel_hi:[1,1,0]
	v_pk_fma_f32 v[50:51], v[54:55], v[62:63], v[76:77] op_sel:[0,1,1] op_sel_hi:[1,1,0] neg_lo:[1,0,0] neg_hi:[1,0,0]
	v_pk_add_f32 v[54:55], v[38:39], v[46:47] neg_lo:[0,1] neg_hi:[0,1]
	v_mov_b32_e32 v43, v51
	v_pk_add_f32 v[74:75], v[80:81], v[42:43]
	v_pk_add_f32 v[76:77], v[80:81], v[42:43] neg_lo:[0,1] neg_hi:[0,1]
	v_pk_fma_f32 v[74:75], v[74:75], 0.5, v[78:79] op_sel_hi:[1,0,1] neg_lo:[1,0,0] neg_hi:[1,0,0]
	v_pk_mul_f32 v[76:77], v[76:77], s[0:1] op_sel_hi:[1,0]
	v_pk_add_f32 v[50:51], v[38:39], v[46:47]
	v_pk_add_f32 v[82:83], v[76:77], v[74:75] op_sel:[1,0] op_sel_hi:[0,1]
	v_pk_add_f32 v[74:75], v[74:75], v[76:77] op_sel:[0,1] op_sel_hi:[1,0] neg_lo:[0,1] neg_hi:[0,1]
	v_mov_b32_e32 v76, v82
	v_mov_b32_e32 v77, v75
	v_mul_f32_e32 v23, 0xbf5db3d7, v83
	v_mul_f32_e32 v15, 0x3f5db3d7, v74
	v_pk_mul_f32 v[84:85], v[76:77], 0.5 op_sel_hi:[1,0]
	v_fmac_f32_e32 v23, 0.5, v74
	v_pk_mul_f32 v[74:75], v[36:37], v[20:21] op_sel:[0,1]
	v_pk_fma_f32 v[76:77], v[76:77], s[0:1], v[84:85] op_sel:[0,0,1] op_sel_hi:[1,1,0] neg_lo:[0,0,1] neg_hi:[0,0,1]
	v_pk_fma_f32 v[84:85], v[36:37], v[20:21], v[74:75] op_sel:[0,0,1] op_sel_hi:[1,1,0] neg_lo:[0,0,1] neg_hi:[0,0,1]
	v_pk_fma_f32 v[36:37], v[36:37], v[20:21], v[74:75] op_sel:[0,0,1] op_sel_hi:[1,0,0]
	v_fmac_f32_e32 v15, 0.5, v83
	v_mov_b32_e32 v85, v37
	v_pk_mul_f32 v[36:37], v[40:41], v[70:71] op_sel_hi:[1,0]
	v_pk_fma_f32 v[50:51], v[50:51], 0.5, v[34:35] op_sel_hi:[1,0,1] neg_lo:[1,0,0] neg_hi:[1,0,0]
	v_pk_fma_f32 v[74:75], v[40:41], v[22:23], v[36:37] op_sel:[0,0,1] op_sel_hi:[1,1,0] neg_lo:[0,0,1] neg_hi:[0,0,1]
	v_pk_fma_f32 v[36:37], v[40:41], v[22:23], v[36:37] op_sel:[0,0,1] op_sel_hi:[1,0,0]
	v_pk_mul_f32 v[54:55], v[54:55], s[0:1] op_sel_hi:[1,0]
	v_mov_b32_e32 v75, v37
	v_pk_mul_f32 v[36:37], v[44:45], v[12:13] op_sel:[0,1]
	v_pk_add_f32 v[72:73], v[54:55], v[50:51] op_sel:[1,0] op_sel_hi:[0,1]
	v_pk_fma_f32 v[40:41], v[44:45], v[12:13], v[36:37] op_sel:[0,0,1] op_sel_hi:[1,1,0] neg_lo:[0,0,1] neg_hi:[0,0,1]
	v_pk_fma_f32 v[36:37], v[44:45], v[12:13], v[36:37] op_sel:[0,0,1] op_sel_hi:[1,0,0]
	v_pk_add_f32 v[50:51], v[50:51], v[54:55] op_sel:[0,1] op_sel_hi:[1,0] neg_lo:[0,1] neg_hi:[0,1]
	v_mov_b32_e32 v41, v37
	v_pk_mul_f32 v[36:37], v[48:49], v[68:69] op_sel_hi:[1,0]
	v_mov_b32_e32 v54, v50
	v_pk_fma_f32 v[44:45], v[48:49], v[14:15], v[36:37] op_sel:[0,0,1] op_sel_hi:[1,1,0] neg_lo:[0,0,1] neg_hi:[0,0,1]
	v_pk_fma_f32 v[36:37], v[48:49], v[14:15], v[36:37] op_sel:[0,0,1] op_sel_hi:[1,0,0]
	v_add_f32_e32 v82, v72, v15
	v_mov_b32_e32 v45, v37
	v_pk_mul_f32 v[36:37], v[52:53], v[62:63] op_sel:[0,1]
	v_pk_add_f32 v[88:89], v[74:75], v[44:45]
	v_pk_fma_f32 v[48:49], v[52:53], v[62:63], v[36:37] op_sel:[0,0,1] op_sel_hi:[1,1,0] neg_lo:[0,0,1] neg_hi:[0,0,1]
	v_pk_fma_f32 v[36:37], v[52:53], v[62:63], v[36:37] op_sel:[0,0,1] op_sel_hi:[1,0,0]
	v_pk_add_f32 v[52:53], v[84:85], v[40:41]
	v_mov_b32_e32 v49, v37
	v_pk_add_f32 v[36:37], v[32:33], v[74:75]
	v_pk_fma_f32 v[32:33], v[88:89], 0.5, v[32:33] op_sel_hi:[1,0,1] neg_lo:[1,0,0] neg_hi:[1,0,0]
	v_pk_add_f32 v[88:89], v[40:41], v[48:49]
	v_pk_add_f32 v[40:41], v[40:41], v[48:49] neg_lo:[0,1] neg_hi:[0,1]
	v_pk_fma_f32 v[84:85], v[88:89], 0.5, v[84:85] op_sel_hi:[1,0,1] neg_lo:[1,0,0] neg_hi:[1,0,0]
	v_pk_add_f32 v[36:37], v[36:37], v[44:45]
	v_pk_add_f32 v[52:53], v[52:53], v[48:49]
	v_pk_add_f32 v[44:45], v[74:75], v[44:45] neg_lo:[0,1] neg_hi:[0,1]
	v_pk_fma_f32 v[48:49], v[40:41], s[0:1], v[84:85] op_sel:[0,0,1] op_sel_hi:[1,0,0]
	v_pk_fma_f32 v[40:41], v[40:41], s[0:1], v[84:85] op_sel:[0,0,1] op_sel_hi:[1,0,0] neg_lo:[1,0,0] neg_hi:[1,0,0]
	v_sub_f32_e32 v50, v72, v15
	v_pk_mul_f32 v[44:45], v[44:45], s[0:1] op_sel_hi:[1,0]
	v_mov_b32_e32 v84, v48
	v_mov_b32_e32 v85, v41
	v_mul_f32_e32 v15, 0xbf5db3d7, v49
	v_pk_add_f32 v[74:75], v[44:45], v[32:33] op_sel:[1,0] op_sel_hi:[0,1]
	v_pk_add_f32 v[32:33], v[32:33], v[44:45] op_sel:[0,1] op_sel_hi:[1,0] neg_lo:[0,1] neg_hi:[0,1]
	v_mul_f32_e32 v13, 0x3f5db3d7, v40
	v_fmac_f32_e32 v15, 0.5, v40
	v_pk_mul_f32 v[40:41], v[84:85], 0.5 op_sel_hi:[1,0]
	v_mov_b32_e32 v44, v32
	v_mov_b32_e32 v45, v75
	v_pk_fma_f32 v[40:41], v[84:85], s[0:1], v[40:41] op_sel:[0,0,1] op_sel_hi:[1,1,0] neg_lo:[0,0,1] neg_hi:[0,0,1]
	v_pk_add_f32 v[86:87], v[36:37], v[52:53]
	v_fmac_f32_e32 v13, 0.5, v49
	v_pk_add_f32 v[84:85], v[44:45], v[40:41]
	v_pk_add_f32 v[36:37], v[36:37], v[52:53] neg_lo:[0,1] neg_hi:[0,1]
	v_add_f32_e32 v49, v33, v15
	v_sub_f32_e32 v32, v74, v13
	v_sub_f32_e32 v33, v33, v15
	ds_write2_b64 v111, v[84:85], v[36:37] offset0:102 offset1:153
	v_pk_add_f32 v[36:37], v[44:45], v[40:41] neg_lo:[0,1] neg_hi:[0,1]
	ds_write2_b64 v111, v[32:33], v[36:37] offset0:204 offset1:255
	v_pk_add_f32 v[34:35], v[34:35], v[38:39]
	v_pk_add_f32 v[36:37], v[78:79], v[80:81]
	v_mov_b32_e32 v55, v73
	v_pk_add_f32 v[34:35], v[34:35], v[46:47]
	v_pk_add_f32 v[36:37], v[36:37], v[42:43]
	v_add_f32_e32 v83, v51, v23
	v_add_f32_e32 v48, v74, v13
	v_pk_add_f32 v[32:33], v[54:55], v[76:77]
	v_pk_add_f32 v[38:39], v[34:35], v[36:37] op_sel:[0,1] op_sel_hi:[1,0] neg_lo:[0,1] neg_hi:[0,1]
	v_pk_add_f32 v[34:35], v[34:35], v[36:37] op_sel:[0,1] op_sel_hi:[1,0]
	v_lshlrev_b32_e32 v13, 5, v248
	v_sub_f32_e32 v51, v51, v23
	v_pk_add_f32 v[72:73], v[54:55], v[76:77] neg_lo:[0,1] neg_hi:[0,1]
	ds_write2_b64 v111, v[86:87], v[48:49] offset1:51
	ds_write2_b64 v57, v[34:35], v[82:83] offset0:50 offset1:101
	ds_write2_b64 v57, v[32:33], v[38:39] offset0:152 offset1:203
	;; [unrolled: 1-line block ×3, first 2 shown]
	v_sub_co_u32_e64 v32, s[0:1], v60, v13
	s_waitcnt lgkmcnt(0)
	s_nop 0
	v_subbrev_co_u32_e64 v33, s[0:1], 0, v61, s[0:1]
	; wave barrier
	global_load_dwordx2 v[78:79], v[32:33], off offset:2312
	global_load_dwordx2 v[80:81], v[32:33], off offset:2720
	;; [unrolled: 1-line block ×5, first 2 shown]
	v_add_co_u32_e64 v32, s[0:1], s14, v32
	s_waitcnt vmcnt(4)
	v_mov_b32_e32 v36, v79
	v_addc_co_u32_e64 v33, s[0:1], 0, v33, s[0:1]
	global_load_dwordx2 v[74:75], v[32:33], off offset:256
	ds_read2_b64 v[32:35], v57 offset0:50 offset1:101
	ds_read2_b64 v[38:41], v111 offset1:51
	ds_read2_b64 v[42:45], v57 offset0:152 offset1:203
	s_waitcnt lgkmcnt(2)
	v_pk_mul_f32 v[46:47], v[32:33], v[78:79] op_sel:[1,0] op_sel_hi:[0,1]
	v_pk_mul_f32 v[36:37], v[32:33], v[36:37] op_sel:[1,0] op_sel_hi:[0,1]
	v_mov_b32_e32 v13, v46
	v_pk_fma_f32 v[36:37], v[32:33], v[78:79], v[36:37] neg_lo:[0,0,1] neg_hi:[0,0,1]
	v_pk_fma_f32 v[32:33], v[32:33], v[78:79], v[12:13] op_sel:[1,0,0] op_sel_hi:[0,1,1]
	s_waitcnt vmcnt(4)
	v_mov_b32_e32 v32, v81
	v_pk_mul_f32 v[46:47], v[34:35], v[32:33] op_sel:[1,0] op_sel_hi:[0,1]
	v_pk_fma_f32 v[54:55], v[34:35], v[80:81], v[46:47] neg_lo:[0,0,1] neg_hi:[0,0,1]
	ds_read2_b64 v[46:49], v67 offset0:126 offset1:177
	v_pk_mul_f32 v[50:51], v[34:35], v[80:81] op_sel:[1,0] op_sel_hi:[0,1]
	v_mov_b32_e32 v13, v50
	s_waitcnt vmcnt(3)
	v_mov_b32_e32 v32, v73
	v_pk_fma_f32 v[60:61], v[34:35], v[80:81], v[12:13] op_sel:[1,0,0] op_sel_hi:[0,1,1]
	s_waitcnt lgkmcnt(0)
	v_pk_mul_f32 v[34:35], v[46:47], v[32:33] op_sel:[1,0] op_sel_hi:[0,1]
	v_pk_fma_f32 v[84:85], v[46:47], v[72:73], v[34:35] neg_lo:[0,0,1] neg_hi:[0,0,1]
	v_pk_mul_f32 v[34:35], v[46:47], v[72:73] op_sel:[1,0] op_sel_hi:[0,1]
	v_mov_b32_e32 v13, v34
	ds_read2_b64 v[50:53], v111 offset0:102 offset1:153
	s_waitcnt vmcnt(2)
	v_pk_mul_f32 v[34:35], v[42:43], v[82:83] op_sel:[0,1]
	v_pk_fma_f32 v[90:91], v[46:47], v[72:73], v[12:13] op_sel:[1,0,0] op_sel_hi:[0,1,1]
	v_pk_fma_f32 v[46:47], v[42:43], v[82:83], v[34:35] op_sel:[0,0,1] op_sel_hi:[1,1,0] neg_lo:[0,0,1] neg_hi:[0,0,1]
	v_pk_fma_f32 v[34:35], v[42:43], v[82:83], v[34:35] op_sel:[0,0,1] op_sel_hi:[1,0,0]
	v_mov_b32_e32 v37, v33
	v_mov_b32_e32 v47, v35
	s_waitcnt vmcnt(1)
	v_pk_mul_f32 v[34:35], v[44:45], v[76:77] op_sel:[0,1]
	v_mov_b32_e32 v55, v61
	v_pk_fma_f32 v[86:87], v[44:45], v[76:77], v[34:35] op_sel:[0,0,1] op_sel_hi:[1,1,0] neg_lo:[0,0,1] neg_hi:[0,0,1]
	v_pk_fma_f32 v[34:35], v[44:45], v[76:77], v[34:35] op_sel:[0,0,1] op_sel_hi:[1,0,0]
	s_waitcnt lgkmcnt(0)
	v_pk_add_f32 v[42:43], v[50:51], v[46:47] neg_lo:[0,1] neg_hi:[0,1]
	v_mov_b32_e32 v87, v35
	v_pk_add_f32 v[34:35], v[38:39], v[36:37] neg_lo:[0,1] neg_hi:[0,1]
	v_pk_add_f32 v[46:47], v[52:53], v[86:87] neg_lo:[0,1] neg_hi:[0,1]
	ds_read2_b64 v[86:89], v111 offset0:204 offset1:255
	v_pk_fma_f32 v[32:33], v[38:39], 2.0, v[34:35] op_sel_hi:[1,0,1] neg_lo:[0,0,1] neg_hi:[0,0,1]
	v_pk_add_f32 v[38:39], v[40:41], v[54:55] neg_lo:[0,1] neg_hi:[0,1]
	v_pk_fma_f32 v[44:45], v[52:53], 2.0, v[46:47] op_sel_hi:[1,0,1] neg_lo:[0,0,1] neg_hi:[0,0,1]
	v_pk_fma_f32 v[36:37], v[40:41], 2.0, v[38:39] op_sel_hi:[1,0,1] neg_lo:[0,0,1] neg_hi:[0,0,1]
	;; [unrolled: 1-line block ×3, first 2 shown]
	v_mov_b32_e32 v85, v91
	s_waitcnt vmcnt(0)
	v_pk_mul_f32 v[50:51], v[48:49], v[74:75] op_sel:[0,1]
	s_nop 0
	v_pk_fma_f32 v[52:53], v[48:49], v[74:75], v[50:51] op_sel:[0,0,1] op_sel_hi:[1,1,0] neg_lo:[0,0,1] neg_hi:[0,0,1]
	v_pk_fma_f32 v[48:49], v[48:49], v[74:75], v[50:51] op_sel:[0,0,1] op_sel_hi:[1,0,0]
	s_waitcnt lgkmcnt(0)
	v_pk_add_f32 v[50:51], v[86:87], v[84:85] neg_lo:[0,1] neg_hi:[0,1]
	v_mov_b32_e32 v53, v49
	v_pk_add_f32 v[54:55], v[88:89], v[52:53] neg_lo:[0,1] neg_hi:[0,1]
	v_pk_fma_f32 v[48:49], v[86:87], 2.0, v[50:51] op_sel_hi:[1,0,1] neg_lo:[0,0,1] neg_hi:[0,0,1]
	v_pk_fma_f32 v[52:53], v[88:89], 2.0, v[54:55] op_sel_hi:[1,0,1] neg_lo:[0,0,1] neg_hi:[0,0,1]
	ds_write2_b64 v111, v[32:33], v[36:37] offset1:51
	ds_write2_b64 v57, v[34:35], v[38:39] offset0:50 offset1:101
	ds_write2_b64 v111, v[40:41], v[44:45] offset0:102 offset1:153
	;; [unrolled: 1-line block ×5, first 2 shown]
	s_waitcnt lgkmcnt(0)
	; wave barrier
	s_waitcnt lgkmcnt(0)
	s_and_saveexec_b64 s[2:3], vcc
	s_cbranch_execz .LBB0_9
; %bb.8:
	s_add_u32 s10, s8, 0x1320
	s_addc_u32 s11, s9, 0
	global_load_dwordx2 v[60:61], v58, s[10:11]
	global_load_dwordx2 v[84:85], v58, s[10:11] offset:288
	global_load_dwordx2 v[112:113], v58, s[10:11] offset:576
	;; [unrolled: 1-line block ×13, first 2 shown]
	v_lshl_add_u64 v[88:89], s[10:11], 0, v[58:59]
	v_add_co_u32_e64 v88, s[0:1], s14, v88
	global_load_dwordx2 v[144:145], v58, s[10:11] offset:4032
	s_nop 0
	v_addc_co_u32_e64 v89, s[0:1], 0, v89, s[0:1]
	global_load_dwordx2 v[146:147], v[88:89], off offset:224
	v_or_b32_e32 v21, 0x1200, v58
	global_load_dwordx2 v[148:149], v21, s[10:11]
	ds_read_b64 v[86:87], v111
	v_add_u32_e32 v13, 0x400, v110
	v_add_u32_e32 v15, 0x800, v110
	s_waitcnt vmcnt(16) lgkmcnt(0)
	v_mul_f32_e32 v21, v87, v61
	v_mul_f32_e32 v89, v86, v61
	v_fma_f32 v88, v86, v60, -v21
	v_fmac_f32_e32 v89, v87, v60
	ds_write_b64 v111, v[88:89]
	ds_read2_b64 v[86:89], v110 offset0:36 offset1:72
	ds_read2_b64 v[90:93], v110 offset0:108 offset1:144
	;; [unrolled: 1-line block ×7, first 2 shown]
	s_waitcnt vmcnt(15) lgkmcnt(6)
	v_mul_f32_e32 v21, v87, v85
	v_mul_f32_e32 v61, v86, v85
	s_waitcnt vmcnt(14)
	v_mul_f32_e32 v23, v89, v113
	v_mul_f32_e32 v85, v88, v113
	s_waitcnt vmcnt(13) lgkmcnt(5)
	v_mul_f32_e32 v57, v91, v117
	v_mul_f32_e32 v113, v90, v117
	s_waitcnt vmcnt(12)
	v_mul_f32_e32 v59, v93, v125
	v_mul_f32_e32 v117, v92, v125
	;; [unrolled: 6-line block ×6, first 2 shown]
	v_fma_f32 v60, v86, v84, -v21
	v_fmac_f32_e32 v61, v87, v84
	v_fma_f32 v84, v88, v112, -v23
	v_fmac_f32_e32 v85, v89, v112
	v_fma_f32 v112, v90, v116, -v57
	v_fmac_f32_e32 v113, v91, v116
	v_fma_f32 v116, v92, v124, -v59
	v_fmac_f32_e32 v117, v93, v124
	v_fma_f32 v124, v94, v126, -v64
	v_fmac_f32_e32 v125, v95, v126
	v_fma_f32 v126, v96, v128, -v65
	v_fmac_f32_e32 v127, v97, v128
	v_fma_f32 v128, v98, v130, -v67
	v_fmac_f32_e32 v129, v99, v130
	v_fma_f32 v130, v100, v132, -v69
	v_fmac_f32_e32 v131, v101, v132
	v_fma_f32 v132, v102, v134, -v71
	v_fmac_f32_e32 v133, v103, v134
	v_fma_f32 v134, v104, v136, -v114
	v_fmac_f32_e32 v135, v105, v136
	v_fma_f32 v136, v106, v138, -v115
	v_fmac_f32_e32 v137, v107, v138
	v_fma_f32 v138, v108, v140, -v118
	v_fmac_f32_e32 v139, v109, v140
	ds_write2_b64 v110, v[60:61], v[84:85] offset0:36 offset1:72
	ds_write2_b64 v110, v[112:113], v[116:117] offset0:108 offset1:144
	;; [unrolled: 1-line block ×6, first 2 shown]
	v_add_u32_e32 v21, 0x1000, v110
	ds_read2_b64 v[86:89], v21 offset0:28 offset1:64
	s_waitcnt vmcnt(3) lgkmcnt(7)
	v_mul_f32_e32 v13, v121, v143
	v_fma_f32 v60, v120, v142, -v13
	v_mul_f32_e32 v61, v120, v143
	s_waitcnt vmcnt(2)
	v_mul_f32_e32 v13, v123, v145
	v_mul_f32_e32 v85, v122, v145
	v_fmac_f32_e32 v61, v121, v142
	v_fma_f32 v84, v122, v144, -v13
	v_fmac_f32_e32 v85, v123, v144
	s_waitcnt vmcnt(1) lgkmcnt(0)
	v_mul_f32_e32 v13, v87, v147
	ds_write2_b64 v15, v[60:61], v[84:85] offset0:212 offset1:248
	v_fma_f32 v60, v86, v146, -v13
	v_mul_f32_e32 v61, v86, v147
	s_waitcnt vmcnt(0)
	v_mul_f32_e32 v13, v89, v149
	v_mul_f32_e32 v85, v88, v149
	v_fmac_f32_e32 v61, v87, v146
	v_fma_f32 v84, v88, v148, -v13
	v_fmac_f32_e32 v85, v89, v148
	ds_write2_b64 v21, v[60:61], v[84:85] offset0:28 offset1:64
.LBB0_9:
	s_or_b64 exec, exec, s[2:3]
	s_waitcnt lgkmcnt(0)
	; wave barrier
	s_waitcnt lgkmcnt(0)
	s_and_saveexec_b64 s[0:1], vcc
	s_cbranch_execz .LBB0_11
; %bb.10:
	ds_read2_b64 v[32:35], v111 offset1:36
	ds_read2_b64 v[36:39], v111 offset0:72 offset1:108
	ds_read2_b64 v[40:43], v111 offset0:144 offset1:180
	ds_read2_b64 v[44:47], v111 offset0:216 offset1:252
	v_add_u32_e32 v13, 0x800, v111
	ds_read2_b64 v[48:51], v13 offset0:32 offset1:68
	ds_read2_b64 v[52:55], v13 offset0:104 offset1:140
	;; [unrolled: 1-line block ×3, first 2 shown]
	v_add_u32_e32 v13, 0xc00, v111
	ds_read2_b64 v[24:27], v13 offset0:120 offset1:156
	ds_read_b64 v[252:253], v111 offset:4608
.LBB0_11:
	s_or_b64 exec, exec, s[0:1]
	v_mov_b32_e32 v108, v16
	v_mov_b32_e32 v109, v16
	;; [unrolled: 1-line block ×44, first 2 shown]
	s_waitcnt lgkmcnt(0)
	; wave barrier
	s_waitcnt lgkmcnt(0)
	s_and_saveexec_b64 s[0:1], vcc
	s_cbranch_execz .LBB0_13
; %bb.12:
	v_pk_add_f32 v[60:61], v[34:35], v[32:33]
	v_lshlrev_b32_e32 v59, 3, v56
	v_pk_add_f32 v[60:61], v[36:37], v[60:61]
	v_pk_add_f32 v[204:205], v[34:35], v[252:253] neg_lo:[0,1] neg_hi:[0,1]
	v_pk_add_f32 v[60:61], v[38:39], v[60:61]
	s_mov_b32 s26, 0xbeb8f4ab
	v_pk_add_f32 v[60:61], v[40:41], v[60:61]
	v_pk_add_f32 v[202:203], v[252:253], v[34:35]
	;; [unrolled: 1-line block ×3, first 2 shown]
	v_pk_add_f32 v[196:197], v[38:39], v[24:25] neg_lo:[0,1] neg_hi:[0,1]
	v_pk_add_f32 v[56:57], v[44:45], v[60:61]
	v_pk_add_f32 v[194:195], v[24:25], v[38:39]
	;; [unrolled: 1-line block ×3, first 2 shown]
	s_mov_b32 s16, 0x3f6eb680
	v_pk_add_f32 v[56:57], v[48:49], v[56:57]
	v_pk_add_f32 v[200:201], v[36:37], v[26:27] neg_lo:[0,1] neg_hi:[0,1]
	v_pk_add_f32 v[56:57], v[50:51], v[56:57]
	v_pk_add_f32 v[176:177], v[42:43], v[28:29] neg_lo:[0,1] neg_hi:[0,1]
	v_pk_add_f32 v[56:57], v[52:53], v[56:57]
	v_pk_add_f32 v[174:175], v[28:29], v[42:43]
	;; [unrolled: 1-line block ×3, first 2 shown]
	s_mov_b32 s40, 0xbf2c7751
	v_pk_add_f32 v[56:57], v[28:29], v[56:57]
	v_pk_add_f32 v[198:199], v[26:27], v[36:37]
	;; [unrolled: 1-line block ×3, first 2 shown]
	s_mov_b32 s14, 0x3f3d2fb0
	v_pk_add_f32 v[56:57], v[24:25], v[56:57]
	v_pk_mul_f32 v[24:25], v[204:205], s[26:27] op_sel_hi:[1,0]
	v_pk_add_f32 v[56:57], v[26:27], v[56:57]
	v_pk_fma_f32 v[28:29], v[202:203], s[16:17], v[24:25] op_sel:[0,0,1] op_sel_hi:[1,0,0]
	v_pk_fma_f32 v[26:27], v[202:203], s[16:17], v[24:25] op_sel:[0,0,1] op_sel_hi:[1,0,0] neg_lo:[0,0,1] neg_hi:[0,0,1]
	v_mov_b32_e32 v24, v28
	v_accvgpr_write_b32 a7, v29
	v_pk_mul_f32 v[28:29], v[200:201], s[40:41] op_sel_hi:[1,0]
	v_pk_add_f32 v[188:189], v[40:41], v[30:31] neg_lo:[0,1] neg_hi:[0,1]
	v_pk_add_f32 v[182:183], v[30:31], v[40:41]
	v_mov_b32_e32 v25, v27
	v_pk_fma_f32 v[34:35], v[198:199], s[14:15], v[28:29] op_sel:[0,0,1] op_sel_hi:[1,0,0]
	v_pk_fma_f32 v[30:31], v[198:199], s[14:15], v[28:29] op_sel:[0,0,1] op_sel_hi:[1,0,0] neg_lo:[0,0,1] neg_hi:[0,0,1]
	v_pk_add_f32 v[24:25], v[32:33], v[24:25]
	v_mov_b32_e32 v28, v34
	v_mov_b32_e32 v29, v31
	s_mov_b32 s48, 0xbf65296c
	v_pk_add_f32 v[24:25], v[28:29], v[24:25]
	s_mov_b32 s10, 0x3ee437d1
	v_pk_mul_f32 v[28:29], v[196:197], s[48:49] op_sel_hi:[1,0]
	v_accvgpr_write_b32 a9, v35
	v_pk_fma_f32 v[34:35], v[194:195], s[10:11], v[28:29] op_sel:[0,0,1] op_sel_hi:[1,0,0]
	v_pk_fma_f32 v[36:37], v[194:195], s[10:11], v[28:29] op_sel:[0,0,1] op_sel_hi:[1,0,0] neg_lo:[0,0,1] neg_hi:[0,0,1]
	v_mov_b32_e32 v28, v34
	v_mov_b32_e32 v29, v37
	s_mov_b32 s38, 0xbf7ee86f
	v_pk_add_f32 v[24:25], v[28:29], v[24:25]
	s_mov_b32 s2, 0x3dbcf732
	v_pk_mul_f32 v[28:29], v[188:189], s[38:39] op_sel_hi:[1,0]
	v_accvgpr_write_b32 a11, v35
	v_pk_fma_f32 v[34:35], v[182:183], s[2:3], v[28:29] op_sel:[0,0,1] op_sel_hi:[1,0,0]
	v_pk_fma_f32 v[40:41], v[182:183], s[2:3], v[28:29] op_sel:[0,0,1] op_sel_hi:[1,0,0] neg_lo:[0,0,1] neg_hi:[0,0,1]
	v_mov_b32_e32 v28, v34
	v_mov_b32_e32 v29, v41
	s_mov_b32 s20, 0xbf763a35
	v_pk_add_f32 v[24:25], v[28:29], v[24:25]
	s_mov_b32 s18, 0xbe8c1d8e
	v_pk_mul_f32 v[28:29], v[176:177], s[20:21] op_sel_hi:[1,0]
	v_pk_add_f32 v[168:169], v[44:45], v[54:55] neg_lo:[0,1] neg_hi:[0,1]
	v_pk_add_f32 v[166:167], v[54:55], v[44:45]
	v_accvgpr_write_b32 a13, v35
	v_pk_fma_f32 v[34:35], v[174:175], s[18:19], v[28:29] op_sel:[0,0,1] op_sel_hi:[1,0,0]
	v_pk_fma_f32 v[44:45], v[174:175], s[18:19], v[28:29] op_sel:[0,0,1] op_sel_hi:[1,0,0] neg_lo:[0,0,1] neg_hi:[0,0,1]
	v_mov_b32_e32 v28, v34
	v_mov_b32_e32 v29, v45
	s_mov_b32 s24, 0xbf4c4adb
	v_pk_add_f32 v[24:25], v[28:29], v[24:25]
	s_mov_b32 s22, 0xbf1a4643
	v_pk_mul_f32 v[28:29], v[168:169], s[24:25] op_sel_hi:[1,0]
	v_accvgpr_write_b32 a3, v152
	v_pk_add_f32 v[152:153], v[48:49], v[50:51] neg_lo:[0,1] neg_hi:[0,1]
	v_accvgpr_write_b32 a1, v150
	v_accvgpr_write_b32 a2, v151
	v_pk_add_f32 v[150:151], v[50:51], v[48:49]
	v_accvgpr_write_b32 a15, v35
	v_pk_fma_f32 v[34:35], v[166:167], s[22:23], v[28:29] op_sel:[0,0,1] op_sel_hi:[1,0,0]
	v_pk_fma_f32 v[48:49], v[166:167], s[22:23], v[28:29] op_sel:[0,0,1] op_sel_hi:[1,0,0] neg_lo:[0,0,1] neg_hi:[0,0,1]
	v_pk_add_f32 v[160:161], v[46:47], v[52:53] neg_lo:[0,1] neg_hi:[0,1]
	v_mov_b32_e32 v28, v34
	v_mov_b32_e32 v29, v49
	s_mov_b32 s30, 0xbf06c442
	v_pk_add_f32 v[158:159], v[52:53], v[46:47]
	v_pk_add_f32 v[24:25], v[28:29], v[24:25]
	s_mov_b32 s28, 0xbf59a7d5
	v_pk_mul_f32 v[28:29], v[160:161], s[30:31] op_sel_hi:[1,0]
	v_accvgpr_write_b32 a17, v35
	v_pk_fma_f32 v[34:35], v[158:159], s[28:29], v[28:29] op_sel:[0,0,1] op_sel_hi:[1,0,0]
	v_pk_fma_f32 v[52:53], v[158:159], s[28:29], v[28:29] op_sel:[0,0,1] op_sel_hi:[1,0,0] neg_lo:[0,0,1] neg_hi:[0,0,1]
	v_mov_b32_e32 v28, v34
	v_mov_b32_e32 v29, v53
	s_mov_b32 s36, 0xbe3c28d5
	v_pk_add_f32 v[24:25], v[28:29], v[24:25]
	s_mov_b32 s34, 0xbf7ba420
	v_pk_mul_f32 v[28:29], v[152:153], s[36:37] op_sel_hi:[1,0]
	v_accvgpr_write_b32 a19, v35
	v_pk_fma_f32 v[34:35], v[150:151], s[34:35], v[28:29] op_sel:[0,0,1] op_sel_hi:[1,0,0]
	v_pk_fma_f32 v[84:85], v[150:151], s[34:35], v[28:29] op_sel:[0,0,1] op_sel_hi:[1,0,0] neg_lo:[0,0,1] neg_hi:[0,0,1]
	v_mov_b32_e32 v28, v34
	v_mov_b32_e32 v29, v85
	v_pk_add_f32 v[56:57], v[252:253], v[56:57]
	v_pk_add_f32 v[24:25], v[28:29], v[24:25]
	ds_write2_b64 v59, v[56:57], v[24:25] offset1:1
	v_pk_mul_f32 v[24:25], v[204:205], s[40:41] op_sel_hi:[1,0]
	v_accvgpr_write_b32 a21, v35
	v_pk_fma_f32 v[28:29], v[202:203], s[14:15], v[24:25] op_sel:[0,0,1] op_sel_hi:[1,0,0]
	v_pk_fma_f32 v[112:113], v[202:203], s[14:15], v[24:25] op_sel:[0,0,1] op_sel_hi:[1,0,0] neg_lo:[0,0,1] neg_hi:[0,0,1]
	v_mov_b32_e32 v24, v28
	v_mov_b32_e32 v31, v29
	v_pk_mul_f32 v[28:29], v[200:201], s[38:39] op_sel_hi:[1,0]
	v_mov_b32_e32 v25, v113
	v_pk_fma_f32 v[34:35], v[198:199], s[2:3], v[28:29] op_sel:[0,0,1] op_sel_hi:[1,0,0]
	v_pk_fma_f32 v[116:117], v[198:199], s[2:3], v[28:29] op_sel:[0,0,1] op_sel_hi:[1,0,0] neg_lo:[0,0,1] neg_hi:[0,0,1]
	v_pk_add_f32 v[24:25], v[32:33], v[24:25]
	v_mov_b32_e32 v28, v34
	v_mov_b32_e32 v29, v117
	v_pk_add_f32 v[24:25], v[28:29], v[24:25]
	v_pk_mul_f32 v[28:29], v[196:197], s[24:25] op_sel_hi:[1,0]
	v_mov_b32_e32 v37, v35
	v_pk_fma_f32 v[34:35], v[194:195], s[22:23], v[28:29] op_sel:[0,0,1] op_sel_hi:[1,0,0]
	v_pk_fma_f32 v[120:121], v[194:195], s[22:23], v[28:29] op_sel:[0,0,1] op_sel_hi:[1,0,0] neg_lo:[0,0,1] neg_hi:[0,0,1]
	v_mov_b32_e32 v28, v34
	v_mov_b32_e32 v29, v121
	v_pk_add_f32 v[24:25], v[28:29], v[24:25]
	v_pk_mul_f32 v[28:29], v[188:189], s[36:37] op_sel_hi:[1,0]
	v_mov_b32_e32 v41, v35
	v_pk_fma_f32 v[34:35], v[182:183], s[34:35], v[28:29] op_sel:[0,0,1] op_sel_hi:[1,0,0]
	v_pk_fma_f32 v[124:125], v[182:183], s[34:35], v[28:29] op_sel:[0,0,1] op_sel_hi:[1,0,0] neg_lo:[0,0,1] neg_hi:[0,0,1]
	v_mov_b32_e32 v28, v34
	v_mov_b32_e32 v29, v125
	s_mov_b32 s52, 0x3f06c442
	v_pk_add_f32 v[24:25], v[28:29], v[24:25]
	v_pk_mul_f32 v[28:29], v[176:177], s[52:53] op_sel_hi:[1,0]
	v_mov_b32_e32 v45, v35
	v_pk_fma_f32 v[34:35], v[174:175], s[28:29], v[28:29] op_sel:[0,0,1] op_sel_hi:[1,0,0]
	v_pk_fma_f32 v[128:129], v[174:175], s[28:29], v[28:29] op_sel:[0,0,1] op_sel_hi:[1,0,0] neg_lo:[0,0,1] neg_hi:[0,0,1]
	v_mov_b32_e32 v28, v34
	v_mov_b32_e32 v29, v129
	s_mov_b32 s50, 0x3f763a35
	;; [unrolled: 8-line block ×4, first 2 shown]
	v_pk_add_f32 v[24:25], v[28:29], v[24:25]
	v_pk_mul_f32 v[28:29], v[152:153], s[44:45] op_sel_hi:[1,0]
	v_mov_b32_e32 v85, v35
	v_pk_fma_f32 v[34:35], v[150:151], s[16:17], v[28:29] op_sel:[0,0,1] op_sel_hi:[1,0,0]
	v_pk_fma_f32 v[140:141], v[150:151], s[16:17], v[28:29] op_sel:[0,0,1] op_sel_hi:[1,0,0] neg_lo:[0,0,1] neg_hi:[0,0,1]
	v_mov_b32_e32 v28, v34
	v_mov_b32_e32 v29, v141
	v_pk_add_f32 v[24:25], v[28:29], v[24:25]
	v_pk_mul_f32 v[28:29], v[204:205], s[48:49] op_sel_hi:[1,0]
	v_accvgpr_write_b32 a23, v35
	v_pk_fma_f32 v[34:35], v[202:203], s[10:11], v[28:29] op_sel:[0,0,1] op_sel_hi:[1,0,0]
	v_pk_fma_f32 v[144:145], v[202:203], s[10:11], v[28:29] op_sel:[0,0,1] op_sel_hi:[1,0,0] neg_lo:[0,0,1] neg_hi:[0,0,1]
	v_mov_b32_e32 v28, v34
	v_mov_b32_e32 v113, v35
	v_pk_mul_f32 v[34:35], v[200:201], s[24:25] op_sel_hi:[1,0]
	v_mov_b32_e32 v29, v145
	v_pk_fma_f32 v[38:39], v[198:199], s[22:23], v[34:35] op_sel:[0,0,1] op_sel_hi:[1,0,0]
	v_pk_fma_f32 v[148:149], v[198:199], s[22:23], v[34:35] op_sel:[0,0,1] op_sel_hi:[1,0,0] neg_lo:[0,0,1] neg_hi:[0,0,1]
	v_pk_add_f32 v[28:29], v[32:33], v[28:29]
	v_mov_b32_e32 v34, v38
	v_mov_b32_e32 v35, v149
	s_mov_b32 s46, 0x3e3c28d5
	v_pk_add_f32 v[28:29], v[34:35], v[28:29]
	v_pk_mul_f32 v[34:35], v[196:197], s[46:47] op_sel_hi:[1,0]
	v_mov_b32_e32 v117, v39
	v_pk_fma_f32 v[38:39], v[194:195], s[34:35], v[34:35] op_sel:[0,0,1] op_sel_hi:[1,0,0]
	v_pk_fma_f32 v[156:157], v[194:195], s[34:35], v[34:35] op_sel:[0,0,1] op_sel_hi:[1,0,0] neg_lo:[0,0,1] neg_hi:[0,0,1]
	v_mov_b32_e32 v34, v38
	v_mov_b32_e32 v35, v157
	v_pk_add_f32 v[28:29], v[34:35], v[28:29]
	v_pk_mul_f32 v[34:35], v[188:189], s[50:51] op_sel_hi:[1,0]
	v_mov_b32_e32 v121, v39
	v_pk_fma_f32 v[38:39], v[182:183], s[18:19], v[34:35] op_sel:[0,0,1] op_sel_hi:[1,0,0]
	v_pk_fma_f32 v[164:165], v[182:183], s[18:19], v[34:35] op_sel:[0,0,1] op_sel_hi:[1,0,0] neg_lo:[0,0,1] neg_hi:[0,0,1]
	v_mov_b32_e32 v34, v38
	v_mov_b32_e32 v35, v165
	s_mov_b32 s46, 0x3f2c7751
	v_pk_add_f32 v[28:29], v[34:35], v[28:29]
	v_pk_mul_f32 v[34:35], v[176:177], s[46:47] op_sel_hi:[1,0]
	v_mov_b32_e32 v125, v39
	v_pk_fma_f32 v[38:39], v[174:175], s[14:15], v[34:35] op_sel:[0,0,1] op_sel_hi:[1,0,0]
	v_pk_fma_f32 v[172:173], v[174:175], s[14:15], v[34:35] op_sel:[0,0,1] op_sel_hi:[1,0,0] neg_lo:[0,0,1] neg_hi:[0,0,1]
	v_mov_b32_e32 v34, v38
	v_mov_b32_e32 v35, v173
	v_pk_add_f32 v[28:29], v[34:35], v[28:29]
	v_pk_mul_f32 v[34:35], v[168:169], s[26:27] op_sel_hi:[1,0]
	v_mov_b32_e32 v129, v39
	v_pk_fma_f32 v[38:39], v[166:167], s[16:17], v[34:35] op_sel:[0,0,1] op_sel_hi:[1,0,0]
	v_pk_fma_f32 v[180:181], v[166:167], s[16:17], v[34:35] op_sel:[0,0,1] op_sel_hi:[1,0,0] neg_lo:[0,0,1] neg_hi:[0,0,1]
	v_mov_b32_e32 v34, v38
	v_mov_b32_e32 v35, v181
	v_pk_add_f32 v[28:29], v[34:35], v[28:29]
	v_pk_mul_f32 v[34:35], v[160:161], s[38:39] op_sel_hi:[1,0]
	v_mov_b32_e32 v133, v39
	v_pk_fma_f32 v[38:39], v[158:159], s[2:3], v[34:35] op_sel:[0,0,1] op_sel_hi:[1,0,0]
	v_pk_fma_f32 v[186:187], v[158:159], s[2:3], v[34:35] op_sel:[0,0,1] op_sel_hi:[1,0,0] neg_lo:[0,0,1] neg_hi:[0,0,1]
	v_mov_b32_e32 v34, v38
	v_mov_b32_e32 v35, v187
	v_pk_add_f32 v[28:29], v[34:35], v[28:29]
	v_pk_mul_f32 v[34:35], v[152:153], s[30:31] op_sel_hi:[1,0]
	v_mov_b32_e32 v137, v39
	v_pk_fma_f32 v[38:39], v[150:151], s[28:29], v[34:35] op_sel:[0,0,1] op_sel_hi:[1,0,0]
	v_pk_fma_f32 v[192:193], v[150:151], s[28:29], v[34:35] op_sel:[0,0,1] op_sel_hi:[1,0,0] neg_lo:[0,0,1] neg_hi:[0,0,1]
	v_mov_b32_e32 v34, v38
	v_mov_b32_e32 v35, v193
	v_pk_add_f32 v[28:29], v[34:35], v[28:29]
	ds_write2_b64 v59, v[24:25], v[28:29] offset0:2 offset1:3
	v_pk_mul_f32 v[24:25], v[204:205], s[38:39] op_sel_hi:[1,0]
	s_mov_b32 s54, 0x3f4c4adb
	v_pk_fma_f32 v[28:29], v[202:203], s[2:3], v[24:25] op_sel:[0,0,1] op_sel_hi:[1,0,0]
	v_pk_fma_f32 v[208:209], v[202:203], s[2:3], v[24:25] op_sel:[0,0,1] op_sel_hi:[1,0,0] neg_lo:[0,0,1] neg_hi:[0,0,1]
	v_mov_b32_e32 v24, v28
	v_mov_b32_e32 v145, v29
	v_pk_mul_f32 v[28:29], v[200:201], s[36:37] op_sel_hi:[1,0]
	v_mov_b32_e32 v25, v209
	v_pk_fma_f32 v[34:35], v[198:199], s[34:35], v[28:29] op_sel:[0,0,1] op_sel_hi:[1,0,0]
	v_pk_fma_f32 v[212:213], v[198:199], s[34:35], v[28:29] op_sel:[0,0,1] op_sel_hi:[1,0,0] neg_lo:[0,0,1] neg_hi:[0,0,1]
	v_pk_add_f32 v[24:25], v[32:33], v[24:25]
	v_mov_b32_e32 v28, v34
	v_mov_b32_e32 v29, v213
	v_pk_add_f32 v[24:25], v[28:29], v[24:25]
	v_pk_mul_f32 v[28:29], v[196:197], s[50:51] op_sel_hi:[1,0]
	v_mov_b32_e32 v149, v35
	v_pk_fma_f32 v[34:35], v[194:195], s[18:19], v[28:29] op_sel:[0,0,1] op_sel_hi:[1,0,0]
	v_pk_fma_f32 v[216:217], v[194:195], s[18:19], v[28:29] op_sel:[0,0,1] op_sel_hi:[1,0,0] neg_lo:[0,0,1] neg_hi:[0,0,1]
	v_mov_b32_e32 v28, v34
	v_mov_b32_e32 v29, v217
	v_pk_add_f32 v[24:25], v[28:29], v[24:25]
	v_pk_mul_f32 v[28:29], v[188:189], s[44:45] op_sel_hi:[1,0]
	v_mov_b32_e32 v157, v35
	v_pk_fma_f32 v[34:35], v[182:183], s[16:17], v[28:29] op_sel:[0,0,1] op_sel_hi:[1,0,0]
	v_pk_fma_f32 v[220:221], v[182:183], s[16:17], v[28:29] op_sel:[0,0,1] op_sel_hi:[1,0,0] neg_lo:[0,0,1] neg_hi:[0,0,1]
	;; [unrolled: 7-line block ×7, first 2 shown]
	v_mov_b32_e32 v24, v28
	v_mov_b32_e32 v209, v29
	v_pk_mul_f32 v[28:29], v[200:201], s[52:53] op_sel_hi:[1,0]
	v_mov_b32_e32 v25, v241
	v_pk_fma_f32 v[34:35], v[198:199], s[28:29], v[28:29] op_sel:[0,0,1] op_sel_hi:[1,0,0]
	v_pk_fma_f32 v[244:245], v[198:199], s[28:29], v[28:29] op_sel:[0,0,1] op_sel_hi:[1,0,0] neg_lo:[0,0,1] neg_hi:[0,0,1]
	v_pk_add_f32 v[24:25], v[32:33], v[24:25]
	v_mov_b32_e32 v28, v34
	v_mov_b32_e32 v29, v245
	v_pk_add_f32 v[24:25], v[28:29], v[24:25]
	v_pk_mul_f32 v[28:29], v[196:197], s[46:47] op_sel_hi:[1,0]
	v_mov_b32_e32 v213, v35
	v_pk_fma_f32 v[34:35], v[194:195], s[14:15], v[28:29] op_sel:[0,0,1] op_sel_hi:[1,0,0]
	v_accvgpr_write_b32 a0, v248
	v_pk_fma_f32 v[248:249], v[194:195], s[14:15], v[28:29] op_sel:[0,0,1] op_sel_hi:[1,0,0] neg_lo:[0,0,1] neg_hi:[0,0,1]
	v_mov_b32_e32 v28, v34
	v_mov_b32_e32 v29, v249
	v_pk_add_f32 v[24:25], v[28:29], v[24:25]
	v_pk_mul_f32 v[28:29], v[188:189], s[48:49] op_sel_hi:[1,0]
	v_mov_b32_e32 v217, v35
	v_pk_fma_f32 v[34:35], v[182:183], s[10:11], v[28:29] op_sel:[0,0,1] op_sel_hi:[1,0,0]
	v_pk_fma_f32 v[252:253], v[182:183], s[10:11], v[28:29] op_sel:[0,0,1] op_sel_hi:[1,0,0] neg_lo:[0,0,1] neg_hi:[0,0,1]
	v_mov_b32_e32 v28, v34
	v_mov_b32_e32 v29, v253
	v_pk_add_f32 v[24:25], v[28:29], v[24:25]
	v_pk_mul_f32 v[28:29], v[176:177], s[36:37] op_sel_hi:[1,0]
	v_mov_b32_e32 v221, v35
	v_pk_fma_f32 v[34:35], v[174:175], s[34:35], v[28:29] op_sel:[0,0,1] op_sel_hi:[1,0,0]
	v_pk_fma_f32 v[254:255], v[174:175], s[34:35], v[28:29] op_sel:[0,0,1] op_sel_hi:[1,0,0] neg_lo:[0,0,1] neg_hi:[0,0,1]
	v_mov_b32_e32 v28, v34
	v_mov_b32_e32 v29, v255
	s_mov_b32 s48, 0x3f7ee86f
	v_pk_add_f32 v[24:25], v[28:29], v[24:25]
	v_pk_mul_f32 v[28:29], v[168:169], s[48:49] op_sel_hi:[1,0]
	v_mov_b32_e32 v225, v35
	v_pk_fma_f32 v[34:35], v[166:167], s[2:3], v[28:29] op_sel:[0,0,1] op_sel_hi:[1,0,0]
	v_pk_fma_f32 v[60:61], v[166:167], s[2:3], v[28:29] op_sel:[0,0,1] op_sel_hi:[1,0,0] neg_lo:[0,0,1] neg_hi:[0,0,1]
	v_mov_b32_e32 v28, v34
	v_mov_b32_e32 v29, v61
	v_pk_add_f32 v[24:25], v[28:29], v[24:25]
	v_pk_mul_f32 v[28:29], v[160:161], s[26:27] op_sel_hi:[1,0]
	v_mov_b32_e32 v229, v35
	v_pk_fma_f32 v[34:35], v[158:159], s[16:17], v[28:29] op_sel:[0,0,1] op_sel_hi:[1,0,0]
	v_pk_fma_f32 v[190:191], v[158:159], s[16:17], v[28:29] op_sel:[0,0,1] op_sel_hi:[1,0,0] neg_lo:[0,0,1] neg_hi:[0,0,1]
	v_mov_b32_e32 v28, v34
	v_mov_b32_e32 v29, v191
	;; [unrolled: 1-line block ×3, first 2 shown]
	v_pk_add_f32 v[118:119], v[28:29], v[24:25]
	v_pk_mul_f32 v[24:25], v[152:153], s[24:25] op_sel_hi:[1,0]
	v_pk_mul_f32 v[64:65], v[200:201], s[50:51] op_sel_hi:[1,0]
	v_pk_fma_f32 v[28:29], v[150:151], s[22:23], v[24:25] op_sel:[0,0,1] op_sel_hi:[1,0,0]
	v_pk_fma_f32 v[24:25], v[150:151], s[22:23], v[24:25] op_sel:[0,0,1] op_sel_hi:[1,0,0] neg_lo:[0,0,1] neg_hi:[0,0,1]
	v_mov_b32_e32 v237, v29
	v_mov_b32_e32 v29, v25
	v_pk_add_f32 v[28:29], v[28:29], v[118:119]
	ds_write2_b64 v59, v[114:115], v[28:29] offset0:4 offset1:5
	v_pk_mul_f32 v[28:29], v[204:205], s[24:25] op_sel_hi:[1,0]
	v_pk_fma_f32 v[142:143], v[198:199], s[18:19], v[64:65] op_sel:[0,0,1] op_sel_hi:[1,0,0]
	v_pk_fma_f32 v[146:147], v[202:203], s[22:23], v[28:29] op_sel:[0,0,1] op_sel_hi:[1,0,0]
	v_pk_fma_f32 v[28:29], v[202:203], s[22:23], v[28:29] op_sel:[0,0,1] op_sel_hi:[1,0,0] neg_lo:[0,0,1] neg_hi:[0,0,1]
	v_mov_b32_e32 v118, v146
	v_mov_b32_e32 v119, v29
	v_pk_fma_f32 v[64:65], v[198:199], s[18:19], v[64:65] op_sel:[0,0,1] op_sel_hi:[1,0,0] neg_lo:[0,0,1] neg_hi:[0,0,1]
	v_mov_b32_e32 v233, v35
	v_pk_add_f32 v[118:119], v[32:33], v[118:119]
	v_mov_b32_e32 v34, v142
	v_mov_b32_e32 v35, v65
	v_pk_add_f32 v[34:35], v[34:35], v[118:119]
	v_pk_mul_f32 v[118:119], v[196:197], s[26:27] op_sel_hi:[1,0]
	v_mov_b32_e32 v141, v39
	v_pk_fma_f32 v[138:139], v[194:195], s[16:17], v[118:119] op_sel:[0,0,1] op_sel_hi:[1,0,0]
	v_pk_fma_f32 v[118:119], v[194:195], s[16:17], v[118:119] op_sel:[0,0,1] op_sel_hi:[1,0,0] neg_lo:[0,0,1] neg_hi:[0,0,1]
	v_mov_b32_e32 v38, v138
	v_mov_b32_e32 v39, v119
	v_pk_add_f32 v[34:35], v[38:39], v[34:35]
	v_pk_mul_f32 v[38:39], v[188:189], s[30:31] op_sel_hi:[1,0]
	v_accvgpr_write_b32 a4, v154
	v_pk_fma_f32 v[134:135], v[182:183], s[28:29], v[38:39] op_sel:[0,0,1] op_sel_hi:[1,0,0]
	v_pk_fma_f32 v[38:39], v[182:183], s[28:29], v[38:39] op_sel:[0,0,1] op_sel_hi:[1,0,0] neg_lo:[0,0,1] neg_hi:[0,0,1]
	v_mov_b32_e32 v42, v134
	v_mov_b32_e32 v43, v39
	v_pk_add_f32 v[34:35], v[42:43], v[34:35]
	v_pk_mul_f32 v[42:43], v[176:177], s[48:49] op_sel_hi:[1,0]
	v_accvgpr_write_b32 a5, v155
	v_pk_fma_f32 v[130:131], v[174:175], s[2:3], v[42:43] op_sel:[0,0,1] op_sel_hi:[1,0,0]
	v_pk_fma_f32 v[42:43], v[174:175], s[2:3], v[42:43] op_sel:[0,0,1] op_sel_hi:[1,0,0] neg_lo:[0,0,1] neg_hi:[0,0,1]
	v_mov_b32_e32 v46, v130
	v_mov_b32_e32 v47, v43
	v_pk_add_f32 v[34:35], v[46:47], v[34:35]
	v_pk_mul_f32 v[46:47], v[168:169], s[40:41] op_sel_hi:[1,0]
	v_pk_mul_f32 v[154:155], v[200:201], s[42:43] op_sel_hi:[1,0]
	v_pk_fma_f32 v[126:127], v[166:167], s[14:15], v[46:47] op_sel:[0,0,1] op_sel_hi:[1,0,0]
	v_pk_fma_f32 v[46:47], v[166:167], s[14:15], v[46:47] op_sel:[0,0,1] op_sel_hi:[1,0,0] neg_lo:[0,0,1] neg_hi:[0,0,1]
	v_mov_b32_e32 v50, v126
	v_mov_b32_e32 v51, v47
	v_pk_add_f32 v[34:35], v[50:51], v[34:35]
	v_pk_mul_f32 v[50:51], v[160:161], s[36:37] op_sel_hi:[1,0]
	v_pk_mul_f32 v[206:207], v[196:197], s[38:39] op_sel_hi:[1,0]
	v_pk_fma_f32 v[122:123], v[158:159], s[34:35], v[50:51] op_sel:[0,0,1] op_sel_hi:[1,0,0]
	v_pk_fma_f32 v[50:51], v[158:159], s[34:35], v[50:51] op_sel:[0,0,1] op_sel_hi:[1,0,0] neg_lo:[0,0,1] neg_hi:[0,0,1]
	v_mov_b32_e32 v54, v122
	v_mov_b32_e32 v55, v51
	v_pk_add_f32 v[34:35], v[54:55], v[34:35]
	v_pk_mul_f32 v[54:55], v[152:153], s[42:43] op_sel_hi:[1,0]
	v_pk_fma_f32 v[226:227], v[198:199], s[10:11], v[154:155] op_sel:[0,0,1] op_sel_hi:[1,0,0]
	v_pk_fma_f32 v[114:115], v[150:151], s[10:11], v[54:55] op_sel:[0,0,1] op_sel_hi:[1,0,0]
	v_pk_fma_f32 v[54:55], v[150:151], s[10:11], v[54:55] op_sel:[0,0,1] op_sel_hi:[1,0,0] neg_lo:[0,0,1] neg_hi:[0,0,1]
	v_mov_b32_e32 v56, v114
	v_mov_b32_e32 v57, v55
	v_pk_add_f32 v[34:35], v[56:57], v[34:35]
	v_pk_mul_f32 v[56:57], v[204:205], s[30:31] op_sel_hi:[1,0]
	v_pk_fma_f32 v[154:155], v[198:199], s[10:11], v[154:155] op_sel:[0,0,1] op_sel_hi:[1,0,0] neg_lo:[0,0,1] neg_hi:[0,0,1]
	v_pk_fma_f32 v[218:219], v[202:203], s[28:29], v[56:57] op_sel:[0,0,1] op_sel_hi:[1,0,0]
	v_pk_fma_f32 v[56:57], v[202:203], s[28:29], v[56:57] op_sel:[0,0,1] op_sel_hi:[1,0,0] neg_lo:[0,0,1] neg_hi:[0,0,1]
	v_mov_b32_e32 v214, v218
	v_mov_b32_e32 v215, v57
	v_pk_mul_f32 v[210:211], v[188:189], s[54:55] op_sel_hi:[1,0]
	v_pk_add_f32 v[214:215], v[32:33], v[214:215]
	v_mov_b32_e32 v222, v226
	v_mov_b32_e32 v223, v155
	v_pk_fma_f32 v[230:231], v[194:195], s[2:3], v[206:207] op_sel:[0,0,1] op_sel_hi:[1,0,0]
	v_pk_fma_f32 v[206:207], v[194:195], s[2:3], v[206:207] op_sel:[0,0,1] op_sel_hi:[1,0,0] neg_lo:[0,0,1] neg_hi:[0,0,1]
	v_pk_add_f32 v[214:215], v[222:223], v[214:215]
	v_mov_b32_e32 v222, v230
	v_mov_b32_e32 v223, v207
	v_pk_fma_f32 v[234:235], v[182:183], s[22:23], v[210:211] op_sel:[0,0,1] op_sel_hi:[1,0,0]
	v_pk_fma_f32 v[210:211], v[182:183], s[22:23], v[210:211] op_sel:[0,0,1] op_sel_hi:[1,0,0] neg_lo:[0,0,1] neg_hi:[0,0,1]
	v_pk_add_f32 v[214:215], v[222:223], v[214:215]
	v_mov_b32_e32 v222, v234
	v_mov_b32_e32 v223, v211
	v_pk_add_f32 v[214:215], v[222:223], v[214:215]
	v_pk_mul_f32 v[222:223], v[176:177], s[26:27] op_sel_hi:[1,0]
	v_mov_b32_e32 v114, v250
	v_pk_fma_f32 v[242:243], v[174:175], s[16:17], v[222:223] op_sel:[0,0,1] op_sel_hi:[1,0,0]
	v_pk_fma_f32 v[222:223], v[174:175], s[16:17], v[222:223] op_sel:[0,0,1] op_sel_hi:[1,0,0] neg_lo:[0,0,1] neg_hi:[0,0,1]
	v_mov_b32_e32 v238, v242
	v_mov_b32_e32 v239, v223
	v_pk_add_f32 v[214:215], v[238:239], v[214:215]
	v_pk_mul_f32 v[238:239], v[168:169], s[36:37] op_sel_hi:[1,0]
	v_pk_mul_f32 v[196:197], v[196:197], s[30:31] op_sel_hi:[1,0]
	v_pk_fma_f32 v[250:251], v[166:167], s[34:35], v[238:239] op_sel:[0,0,1] op_sel_hi:[1,0,0]
	v_pk_fma_f32 v[238:239], v[166:167], s[34:35], v[238:239] op_sel:[0,0,1] op_sel_hi:[1,0,0] neg_lo:[0,0,1] neg_hi:[0,0,1]
	v_mov_b32_e32 v246, v250
	v_mov_b32_e32 v247, v239
	v_pk_add_f32 v[214:215], v[246:247], v[214:215]
	v_pk_mul_f32 v[246:247], v[160:161], s[46:47] op_sel_hi:[1,0]
	v_pk_mul_f32 v[188:189], v[188:189], s[46:47] op_sel_hi:[1,0]
	;; [unrolled: 7-line block ×3, first 2 shown]
	v_pk_fma_f32 v[162:163], v[150:151], s[18:19], v[214:215] op_sel:[0,0,1] op_sel_hi:[1,0,0]
	v_pk_fma_f32 v[214:215], v[150:151], s[18:19], v[214:215] op_sel:[0,0,1] op_sel_hi:[1,0,0] neg_lo:[0,0,1] neg_hi:[0,0,1]
	v_mov_b32_e32 v170, v162
	v_mov_b32_e32 v171, v215
	v_pk_add_f32 v[170:171], v[170:171], v[184:185]
	ds_write2_b64 v59, v[34:35], v[170:171] offset0:6 offset1:7
	v_pk_mul_f32 v[34:35], v[204:205], s[36:37] op_sel_hi:[1,0]
	v_pk_mul_f32 v[184:185], v[200:201], s[44:45] op_sel_hi:[1,0]
	v_pk_fma_f32 v[170:171], v[202:203], s[34:35], v[34:35] op_sel:[0,0,1] op_sel_hi:[1,0,0]
	v_pk_fma_f32 v[34:35], v[202:203], s[34:35], v[34:35] op_sel:[0,0,1] op_sel_hi:[1,0,0] neg_lo:[0,0,1] neg_hi:[0,0,1]
	v_pk_fma_f32 v[200:201], v[198:199], s[16:17], v[184:185] op_sel:[0,0,1] op_sel_hi:[1,0,0]
	v_pk_fma_f32 v[184:185], v[198:199], s[16:17], v[184:185] op_sel:[0,0,1] op_sel_hi:[1,0,0] neg_lo:[0,0,1] neg_hi:[0,0,1]
	v_mov_b32_e32 v198, v170
	v_mov_b32_e32 v199, v35
	v_pk_add_f32 v[198:199], v[32:33], v[198:199]
	v_mov_b32_e32 v202, v200
	v_mov_b32_e32 v203, v185
	v_pk_add_f32 v[198:199], v[202:203], v[198:199]
	v_pk_fma_f32 v[202:203], v[194:195], s[28:29], v[196:197] op_sel:[0,0,1] op_sel_hi:[1,0,0]
	v_pk_fma_f32 v[194:195], v[194:195], s[28:29], v[196:197] op_sel:[0,0,1] op_sel_hi:[1,0,0] neg_lo:[0,0,1] neg_hi:[0,0,1]
	v_mov_b32_e32 v196, v202
	v_mov_b32_e32 v197, v195
	v_pk_add_f32 v[196:197], v[196:197], v[198:199]
	v_pk_fma_f32 v[198:199], v[182:183], s[14:15], v[188:189] op_sel:[0,0,1] op_sel_hi:[1,0,0]
	v_pk_fma_f32 v[182:183], v[182:183], s[14:15], v[188:189] op_sel:[0,0,1] op_sel_hi:[1,0,0] neg_lo:[0,0,1] neg_hi:[0,0,1]
	;; [unrolled: 5-line block ×3, first 2 shown]
	v_mov_b32_e32 v35, v171
	v_mov_b32_e32 v176, v196
	;; [unrolled: 1-line block ×3, first 2 shown]
	v_pk_mul_f32 v[168:169], v[168:169], s[42:43] op_sel_hi:[1,0]
	v_mov_b32_e32 v185, v201
	v_pk_add_f32 v[34:35], v[32:33], v[34:35]
	v_pk_add_f32 v[176:177], v[176:177], v[188:189]
	v_pk_fma_f32 v[188:189], v[166:167], s[10:11], v[168:169] op_sel:[0,0,1] op_sel_hi:[1,0,0]
	v_pk_fma_f32 v[166:167], v[166:167], s[10:11], v[168:169] op_sel:[0,0,1] op_sel_hi:[1,0,0] neg_lo:[0,0,1] neg_hi:[0,0,1]
	v_pk_add_f32 v[34:35], v[184:185], v[34:35]
	v_mov_b32_e32 v195, v203
	v_mov_b32_e32 v168, v188
	;; [unrolled: 1-line block ×3, first 2 shown]
	v_pk_mul_f32 v[160:161], v[160:161], s[20:21] op_sel_hi:[1,0]
	v_pk_add_f32 v[34:35], v[194:195], v[34:35]
	v_mov_b32_e32 v183, v199
	v_pk_add_f32 v[168:169], v[168:169], v[176:177]
	v_pk_fma_f32 v[176:177], v[158:159], s[18:19], v[160:161] op_sel:[0,0,1] op_sel_hi:[1,0,0]
	v_pk_fma_f32 v[158:159], v[158:159], s[18:19], v[160:161] op_sel:[0,0,1] op_sel_hi:[1,0,0] neg_lo:[0,0,1] neg_hi:[0,0,1]
	v_pk_add_f32 v[34:35], v[182:183], v[34:35]
	v_mov_b32_e32 v175, v197
	v_mov_b32_e32 v160, v176
	;; [unrolled: 1-line block ×3, first 2 shown]
	v_pk_mul_f32 v[152:153], v[152:153], s[48:49] op_sel_hi:[1,0]
	v_pk_add_f32 v[34:35], v[174:175], v[34:35]
	v_mov_b32_e32 v167, v189
	v_pk_add_f32 v[160:161], v[160:161], v[168:169]
	v_pk_fma_f32 v[168:169], v[150:151], s[2:3], v[152:153] op_sel:[0,0,1] op_sel_hi:[1,0,0]
	v_pk_fma_f32 v[150:151], v[150:151], s[2:3], v[152:153] op_sel:[0,0,1] op_sel_hi:[1,0,0] neg_lo:[0,0,1] neg_hi:[0,0,1]
	v_pk_add_f32 v[34:35], v[166:167], v[34:35]
	v_mov_b32_e32 v159, v177
	v_mov_b32_e32 v152, v168
	;; [unrolled: 1-line block ×3, first 2 shown]
	v_pk_add_f32 v[34:35], v[158:159], v[34:35]
	v_mov_b32_e32 v151, v169
	v_pk_add_f32 v[152:153], v[152:153], v[160:161]
	v_pk_add_f32 v[34:35], v[150:151], v[34:35]
	v_mov_b32_e32 v57, v219
	v_mov_b32_e32 v29, v147
	ds_write2_b64 v59, v[152:153], v[34:35] offset0:8 offset1:9
	v_pk_add_f32 v[34:35], v[32:33], v[56:57]
	v_mov_b32_e32 v155, v227
	v_pk_add_f32 v[28:29], v[32:33], v[28:29]
	v_mov_b32_e32 v65, v143
	v_pk_add_f32 v[34:35], v[154:155], v[34:35]
	v_mov_b32_e32 v207, v231
	v_pk_add_f32 v[28:29], v[64:65], v[28:29]
	v_mov_b32_e32 v119, v139
	v_pk_add_f32 v[34:35], v[206:207], v[34:35]
	v_mov_b32_e32 v211, v235
	v_pk_add_f32 v[28:29], v[118:119], v[28:29]
	v_mov_b32_e32 v39, v135
	v_pk_add_f32 v[34:35], v[210:211], v[34:35]
	v_mov_b32_e32 v223, v243
	v_pk_add_f32 v[28:29], v[38:39], v[28:29]
	v_mov_b32_e32 v43, v131
	v_pk_add_f32 v[34:35], v[222:223], v[34:35]
	v_mov_b32_e32 v239, v251
	v_pk_add_f32 v[28:29], v[42:43], v[28:29]
	v_mov_b32_e32 v47, v127
	v_pk_add_f32 v[34:35], v[238:239], v[34:35]
	v_mov_b32_e32 v247, v179
	v_pk_add_f32 v[28:29], v[46:47], v[28:29]
	v_mov_b32_e32 v51, v123
	v_pk_add_f32 v[34:35], v[246:247], v[34:35]
	v_mov_b32_e32 v215, v163
	v_pk_add_f32 v[28:29], v[50:51], v[28:29]
	v_mov_b32_e32 v55, v115
	v_pk_add_f32 v[34:35], v[214:215], v[34:35]
	v_pk_add_f32 v[28:29], v[54:55], v[28:29]
	v_mov_b32_e32 v241, v209
	ds_write2_b64 v59, v[34:35], v[28:29] offset0:10 offset1:11
	v_pk_add_f32 v[28:29], v[32:33], v[240:241]
	v_mov_b32_e32 v245, v213
	v_pk_add_f32 v[28:29], v[244:245], v[28:29]
	v_mov_b32_e32 v249, v217
	;; [unrolled: 2-line block ×7, first 2 shown]
	v_mov_b32_e32 v209, v145
	v_pk_add_f32 v[24:25], v[24:25], v[28:29]
	v_pk_add_f32 v[28:29], v[32:33], v[208:209]
	v_mov_b32_e32 v213, v149
	v_pk_add_f32 v[28:29], v[212:213], v[28:29]
	v_mov_b32_e32 v217, v157
	;; [unrolled: 2-line block ×8, first 2 shown]
	v_mov_b32_e32 v113, v31
	ds_write2_b64 v59, v[24:25], v[28:29] offset0:12 offset1:13
	v_pk_add_f32 v[24:25], v[32:33], v[144:145]
	v_mov_b32_e32 v149, v117
	v_pk_add_f32 v[28:29], v[32:33], v[112:113]
	v_mov_b32_e32 v117, v37
	;; [unrolled: 2-line block ×13, first 2 shown]
	v_pk_add_f32 v[28:29], v[136:137], v[28:29]
	v_accvgpr_read_b32 v141, a23
	v_mov_b32_e32 v119, v27
	v_pk_add_f32 v[24:25], v[192:193], v[24:25]
	v_pk_add_f32 v[28:29], v[140:141], v[28:29]
	v_accvgpr_read_b32 v27, a7
	ds_write2_b64 v59, v[24:25], v[28:29] offset0:14 offset1:15
	v_pk_add_f32 v[24:25], v[32:33], v[26:27]
	v_accvgpr_read_b32 v31, a9
	v_pk_add_f32 v[24:25], v[30:31], v[24:25]
	v_accvgpr_read_b32 v37, a11
	;; [unrolled: 2-line block ×6, first 2 shown]
	v_accvgpr_read_b32 v155, a5
	v_pk_add_f32 v[24:25], v[52:53], v[24:25]
	v_accvgpr_read_b32 v85, a21
	v_accvgpr_read_b32 v151, a2
	;; [unrolled: 1-line block ×5, first 2 shown]
	v_mov_b32_e32 v250, v114
	v_accvgpr_read_b32 v248, a0
	v_pk_add_f32 v[24:25], v[84:85], v[24:25]
	ds_write_b64 v59, v[24:25] offset:128
.LBB0_13:
	s_or_b64 exec, exec, s[0:1]
	v_add_u32_e32 v46, 0x800, v111
	s_waitcnt lgkmcnt(0)
	; wave barrier
	s_waitcnt lgkmcnt(0)
	ds_read2_b64 v[24:27], v46 offset0:50 offset1:101
	ds_read2_b64 v[28:31], v111 offset0:102 offset1:153
	v_add_u32_e32 v47, 0xc00, v111
	ds_read2_b64 v[32:35], v47 offset0:126 offset1:177
	s_mov_b32 s0, 0x3f5db3d7
	s_waitcnt lgkmcnt(2)
	v_pk_mul_f32 v[16:17], v[16:17], v[26:27]
	v_pk_mul_f32 v[8:9], v[8:9], v[24:25]
	v_pk_fma_f32 v[36:37], v[108:109], v[26:27], v[16:17] op_sel:[0,0,1] op_sel_hi:[1,1,0]
	v_pk_fma_f32 v[16:17], v[108:109], v[26:27], v[16:17] op_sel:[0,0,1] op_sel_hi:[1,1,0] neg_lo:[0,0,1] neg_hi:[0,0,1]
	v_pk_fma_f32 v[40:41], v[104:105], v[24:25], v[8:9] op_sel:[0,0,1] op_sel_hi:[1,1,0]
	v_pk_fma_f32 v[8:9], v[104:105], v[24:25], v[8:9] op_sel:[0,0,1] op_sel_hi:[1,1,0] neg_lo:[0,0,1] neg_hi:[0,0,1]
	v_mov_b32_e32 v37, v17
	s_waitcnt lgkmcnt(0)
	v_pk_mul_f32 v[16:17], v[18:19], v[34:35]
	v_mov_b32_e32 v41, v9
	v_pk_mul_f32 v[8:9], v[10:11], v[32:33]
	v_pk_fma_f32 v[38:39], v[106:107], v[34:35], v[16:17] op_sel:[0,0,1] op_sel_hi:[1,1,0]
	v_pk_fma_f32 v[16:17], v[106:107], v[34:35], v[16:17] op_sel:[0,0,1] op_sel_hi:[1,1,0] neg_lo:[0,0,1] neg_hi:[0,0,1]
	v_pk_fma_f32 v[42:43], v[102:103], v[32:33], v[8:9] op_sel:[0,0,1] op_sel_hi:[1,1,0]
	v_pk_fma_f32 v[8:9], v[102:103], v[32:33], v[8:9] op_sel:[0,0,1] op_sel_hi:[1,1,0] neg_lo:[0,0,1] neg_hi:[0,0,1]
	v_mov_b32_e32 v39, v17
	v_pk_add_f32 v[16:17], v[30:31], v[36:37]
	v_mov_b32_e32 v43, v9
	ds_read2_b64 v[8:11], v111 offset0:204 offset1:255
	v_pk_add_f32 v[34:35], v[16:17], v[38:39]
	v_pk_add_f32 v[16:17], v[28:29], v[40:41]
	s_mov_b32 s10, 0.5
	v_pk_add_f32 v[32:33], v[16:17], v[42:43]
	ds_read2_b64 v[16:19], v111 offset1:51
	ds_read2_b64 v[24:27], v46 offset0:152 offset1:203
	s_waitcnt lgkmcnt(2)
	v_pk_mul_f32 v[4:5], v[4:5], v[10:11]
	v_pk_mul_f32 v[0:1], v[0:1], v[8:9]
	v_pk_fma_f32 v[44:45], v[100:101], v[10:11], v[4:5] op_sel:[0,0,1] op_sel_hi:[1,1,0]
	v_pk_fma_f32 v[4:5], v[100:101], v[10:11], v[4:5] op_sel:[0,0,1] op_sel_hi:[1,1,0] neg_lo:[0,0,1] neg_hi:[0,0,1]
	v_pk_fma_f32 v[10:11], v[96:97], v[8:9], v[0:1] op_sel:[0,0,1] op_sel_hi:[1,1,0]
	v_pk_fma_f32 v[0:1], v[96:97], v[8:9], v[0:1] op_sel:[0,0,1] op_sel_hi:[1,1,0] neg_lo:[0,0,1] neg_hi:[0,0,1]
	v_mov_b32_e32 v45, v5
	v_mov_b32_e32 v11, v1
	s_waitcnt lgkmcnt(0)
	v_pk_mul_f32 v[0:1], v[2:3], v[24:25]
	v_pk_mul_f32 v[4:5], v[6:7], v[26:27]
	v_pk_fma_f32 v[2:3], v[94:95], v[24:25], v[0:1] op_sel:[0,0,1] op_sel_hi:[1,1,0]
	v_pk_fma_f32 v[0:1], v[94:95], v[24:25], v[0:1] op_sel:[0,0,1] op_sel_hi:[1,1,0] neg_lo:[0,0,1] neg_hi:[0,0,1]
	v_pk_fma_f32 v[6:7], v[98:99], v[26:27], v[4:5] op_sel:[0,0,1] op_sel_hi:[1,1,0]
	v_mov_b32_e32 v3, v1
	v_pk_add_f32 v[0:1], v[16:17], v[10:11]
	v_pk_add_f32 v[8:9], v[10:11], v[2:3]
	;; [unrolled: 1-line block ×3, first 2 shown]
	v_pk_add_f32 v[2:3], v[10:11], v[2:3] neg_lo:[0,1] neg_hi:[0,1]
	v_pk_fma_f32 v[8:9], v[8:9], 0.5, v[16:17] op_sel_hi:[1,0,1] neg_lo:[1,0,0] neg_hi:[1,0,0]
	v_pk_mul_f32 v[2:3], v[2:3], s[0:1] op_sel_hi:[1,0]
	v_pk_fma_f32 v[4:5], v[98:99], v[26:27], v[4:5] op_sel:[0,0,1] op_sel_hi:[1,1,0] neg_lo:[0,0,1] neg_hi:[0,0,1]
	v_pk_add_f32 v[10:11], v[8:9], v[2:3] op_sel:[0,1] op_sel_hi:[1,0] neg_lo:[0,1] neg_hi:[0,1]
	v_pk_add_f32 v[2:3], v[8:9], v[2:3] op_sel:[0,1] op_sel_hi:[1,0]
	v_mov_b32_e32 v7, v5
	v_mov_b32_e32 v8, v10
	;; [unrolled: 1-line block ×4, first 2 shown]
	s_waitcnt lgkmcnt(0)
	; wave barrier
	ds_write2_b64 v152, v[0:1], v[8:9] offset1:17
	ds_write_b64 v152, v[2:3] offset:272
	v_pk_add_f32 v[0:1], v[44:45], v[6:7]
	v_pk_add_f32 v[2:3], v[44:45], v[6:7] neg_lo:[0,1] neg_hi:[0,1]
	v_pk_add_f32 v[4:5], v[18:19], v[44:45]
	v_pk_fma_f32 v[0:1], v[0:1], 0.5, v[18:19] op_sel_hi:[1,0,1] neg_lo:[1,0,0] neg_hi:[1,0,0]
	v_pk_mul_f32 v[2:3], v[2:3], s[0:1] op_sel_hi:[1,0]
	v_pk_add_f32 v[4:5], v[4:5], v[6:7]
	v_pk_add_f32 v[6:7], v[0:1], v[2:3] op_sel:[0,1] op_sel_hi:[1,0] neg_lo:[0,1] neg_hi:[0,1]
	v_pk_add_f32 v[0:1], v[0:1], v[2:3] op_sel:[0,1] op_sel_hi:[1,0]
	v_mov_b32_e32 v2, v6
	v_mov_b32_e32 v3, v1
	;; [unrolled: 1-line block ×3, first 2 shown]
	ds_write2_b64 v151, v[4:5], v[2:3] offset1:17
	ds_write_b64 v151, v[0:1] offset:272
	v_pk_add_f32 v[0:1], v[40:41], v[42:43]
	v_pk_add_f32 v[2:3], v[40:41], v[42:43] neg_lo:[0,1] neg_hi:[0,1]
	v_pk_fma_f32 v[0:1], v[0:1], 0.5, v[28:29] op_sel_hi:[1,0,1] neg_lo:[1,0,0] neg_hi:[1,0,0]
	v_pk_mul_f32 v[2:3], v[2:3], s[0:1] op_sel_hi:[1,0]
	s_mov_b32 s11, s0
	v_pk_add_f32 v[4:5], v[0:1], v[2:3] op_sel:[0,1] op_sel_hi:[1,0] neg_lo:[0,1] neg_hi:[0,1]
	v_pk_add_f32 v[0:1], v[0:1], v[2:3] op_sel:[0,1] op_sel_hi:[1,0]
	v_mov_b32_e32 v2, v4
	v_mov_b32_e32 v3, v1
	;; [unrolled: 1-line block ×3, first 2 shown]
	ds_write2_b64 v150, v[32:33], v[2:3] offset1:17
	ds_write_b64 v150, v[0:1] offset:272
	v_pk_add_f32 v[0:1], v[36:37], v[38:39]
	v_pk_add_f32 v[2:3], v[36:37], v[38:39] neg_lo:[0,1] neg_hi:[0,1]
	v_pk_fma_f32 v[0:1], v[0:1], 0.5, v[30:31] op_sel_hi:[1,0,1] neg_lo:[1,0,0] neg_hi:[1,0,0]
	v_pk_mul_f32 v[2:3], v[2:3], s[0:1] op_sel_hi:[1,0]
	s_mov_b32 s2, -0.5
	v_pk_add_f32 v[4:5], v[0:1], v[2:3] op_sel:[0,1] op_sel_hi:[1,0] neg_lo:[0,1] neg_hi:[0,1]
	v_pk_add_f32 v[0:1], v[0:1], v[2:3] op_sel:[0,1] op_sel_hi:[1,0]
	v_mov_b32_e32 v2, v4
	v_mov_b32_e32 v3, v1
	v_mov_b32_e32 v1, v5
	ds_write2_b64 v119, v[34:35], v[2:3] offset1:17
	ds_write_b64 v119, v[0:1] offset:272
	s_waitcnt lgkmcnt(0)
	; wave barrier
	s_waitcnt lgkmcnt(0)
	ds_read2_b64 v[0:3], v111 offset1:51
	ds_read2_b64 v[4:7], v111 offset0:102 offset1:153
	ds_read2_b64 v[8:11], v111 offset0:204 offset1:255
	;; [unrolled: 1-line block ×5, first 2 shown]
	s_waitcnt lgkmcnt(4)
	v_pk_mul_f32 v[32:33], v[66:67], v[4:5]
	s_mov_b32 s3, s0
	v_pk_fma_f32 v[34:35], v[20:21], v[4:5], v[32:33] op_sel:[0,0,1] op_sel_hi:[1,1,0]
	v_pk_fma_f32 v[4:5], v[20:21], v[4:5], v[32:33] op_sel:[0,0,1] op_sel_hi:[1,1,0] neg_lo:[0,0,1] neg_hi:[0,0,1]
	s_waitcnt lgkmcnt(3)
	v_pk_mul_f32 v[32:33], v[70:71], v[8:9]
	v_mov_b32_e32 v35, v5
	v_pk_fma_f32 v[36:37], v[22:23], v[8:9], v[32:33] op_sel:[0,0,1] op_sel_hi:[1,1,0]
	v_pk_fma_f32 v[8:9], v[22:23], v[8:9], v[32:33] op_sel:[0,0,1] op_sel_hi:[1,1,0] neg_lo:[0,0,1] neg_hi:[0,0,1]
	v_mov_b32_e32 v4, v34
	v_mov_b32_e32 v37, v9
	s_waitcnt lgkmcnt(2)
	v_pk_mul_f32 v[8:9], v[154:155], v[16:17]
	s_waitcnt lgkmcnt(0)
	v_pk_fma_f32 v[32:33], v[12:13], v[16:17], v[8:9] op_sel:[0,0,1] op_sel_hi:[1,1,0]
	v_pk_fma_f32 v[8:9], v[12:13], v[16:17], v[8:9] op_sel:[0,0,1] op_sel_hi:[1,1,0] neg_lo:[0,0,1] neg_hi:[0,0,1]
	; wave barrier
	s_nop 0
	v_mov_b32_e32 v33, v9
	v_pk_mul_f32 v[8:9], v[68:69], v[24:25]
	s_nop 0
	v_pk_fma_f32 v[16:17], v[14:15], v[24:25], v[8:9] op_sel:[0,0,1] op_sel_hi:[1,1,0]
	v_pk_fma_f32 v[8:9], v[14:15], v[24:25], v[8:9] op_sel:[0,0,1] op_sel_hi:[1,1,0] neg_lo:[0,0,1] neg_hi:[0,0,1]
	s_nop 0
	v_mov_b32_e32 v17, v9
	v_pk_mul_f32 v[8:9], v[62:63], v[28:29]
	s_nop 0
	v_pk_fma_f32 v[24:25], v[92:93], v[28:29], v[8:9] op_sel:[0,0,1] op_sel_hi:[1,1,0]
	v_pk_fma_f32 v[8:9], v[92:93], v[28:29], v[8:9] op_sel:[0,0,1] op_sel_hi:[1,1,0] neg_lo:[0,0,1] neg_hi:[0,0,1]
	s_nop 0
	v_mov_b32_e32 v25, v9
	v_pk_add_f32 v[28:29], v[32:33], v[24:25]
	v_pk_add_f32 v[8:9], v[0:1], v[36:37]
	v_fmac_f32_e32 v4, -0.5, v28
	v_pk_add_f32 v[38:39], v[32:33], v[24:25] neg_lo:[0,1] neg_hi:[0,1]
	v_pk_add_f32 v[32:33], v[34:35], v[32:33]
	v_fmac_f32_e32 v5, -0.5, v29
	v_pk_add_f32 v[8:9], v[8:9], v[16:17]
	v_fmamk_f32 v28, v39, 0xbf5db3d7, v4
	v_fmac_f32_e32 v4, 0x3f5db3d7, v39
	v_pk_add_f32 v[24:25], v[32:33], v[24:25]
	v_fmamk_f32 v32, v38, 0x3f5db3d7, v5
	v_fmac_f32_e32 v5, 0xbf5db3d7, v38
	v_pk_add_f32 v[38:39], v[36:37], v[16:17]
	v_pk_add_f32 v[16:17], v[36:37], v[16:17] neg_lo:[0,1] neg_hi:[0,1]
	v_pk_fma_f32 v[0:1], v[38:39], 0.5, v[0:1] op_sel_hi:[1,0,1] neg_lo:[1,0,0] neg_hi:[1,0,0]
	v_pk_mul_f32 v[16:17], v[16:17], s[0:1] op_sel_hi:[1,0]
	s_mov_b32 s1, s10
	v_pk_mul_f32 v[32:33], v[32:33], s[0:1] op_sel_hi:[0,1]
	v_pk_fma_f32 v[38:39], v[28:29], s[10:11], v[32:33] neg_lo:[0,0,1] neg_hi:[0,0,1]
	v_pk_fma_f32 v[28:29], v[28:29], s[10:11], v[32:33] op_sel_hi:[0,1,1]
	v_mov_b32_e32 v32, v5
	v_pk_add_f32 v[36:37], v[0:1], v[16:17] op_sel:[0,1] op_sel_hi:[1,0] neg_lo:[0,1] neg_hi:[0,1]
	v_pk_add_f32 v[0:1], v[0:1], v[16:17] op_sel:[0,1] op_sel_hi:[1,0]
	v_pk_mul_f32 v[32:33], v[32:33], s[0:1] op_sel_hi:[0,1]
	v_mov_b32_e32 v17, v1
	v_pk_fma_f32 v[4:5], v[4:5], s[2:3], v[32:33] op_sel_hi:[0,1,1] neg_lo:[0,0,1] neg_hi:[0,0,1]
	v_mov_b32_e32 v1, v37
	v_pk_add_f32 v[32:33], v[0:1], v[4:5]
	v_pk_add_f32 v[0:1], v[0:1], v[4:5] neg_lo:[0,1] neg_hi:[0,1]
	v_pk_mul_f32 v[4:5], v[70:71], v[10:11]
	v_pk_add_f32 v[34:35], v[8:9], v[24:25]
	v_pk_add_f32 v[8:9], v[8:9], v[24:25] neg_lo:[0,1] neg_hi:[0,1]
	v_pk_fma_f32 v[24:25], v[22:23], v[10:11], v[4:5] op_sel:[0,0,1] op_sel_hi:[1,1,0]
	v_pk_fma_f32 v[4:5], v[22:23], v[10:11], v[4:5] op_sel:[0,0,1] op_sel_hi:[1,1,0] neg_lo:[0,0,1] neg_hi:[0,0,1]
	v_mov_b32_e32 v16, v36
	v_mov_b32_e32 v25, v5
	v_pk_mul_f32 v[4:5], v[68:69], v[26:27]
	v_mov_b32_e32 v39, v29
	v_pk_fma_f32 v[10:11], v[14:15], v[26:27], v[4:5] op_sel:[0,0,1] op_sel_hi:[1,1,0]
	v_pk_fma_f32 v[4:5], v[14:15], v[26:27], v[4:5] op_sel:[0,0,1] op_sel_hi:[1,1,0] neg_lo:[0,0,1] neg_hi:[0,0,1]
	v_pk_mul_f32 v[26:27], v[66:67], v[6:7]
	v_mov_b32_e32 v11, v5
	v_pk_fma_f32 v[36:37], v[20:21], v[6:7], v[26:27] op_sel:[0,0,1] op_sel_hi:[1,1,0]
	v_pk_fma_f32 v[6:7], v[20:21], v[6:7], v[26:27] op_sel:[0,0,1] op_sel_hi:[1,1,0] neg_lo:[0,0,1] neg_hi:[0,0,1]
	v_pk_mul_f32 v[20:21], v[154:155], v[18:19]
	v_pk_add_f32 v[4:5], v[24:25], v[10:11]
	v_pk_fma_f32 v[26:27], v[12:13], v[18:19], v[20:21] op_sel:[0,0,1] op_sel_hi:[1,1,0]
	v_pk_fma_f32 v[12:13], v[12:13], v[18:19], v[20:21] op_sel:[0,0,1] op_sel_hi:[1,1,0] neg_lo:[0,0,1] neg_hi:[0,0,1]
	v_pk_add_f32 v[14:15], v[24:25], v[10:11] neg_lo:[0,1] neg_hi:[0,1]
	v_mov_b32_e32 v27, v13
	v_pk_mul_f32 v[12:13], v[62:63], v[30:31]
	v_pk_fma_f32 v[4:5], v[4:5], 0.5, v[2:3] op_sel_hi:[1,0,1] neg_lo:[1,0,0] neg_hi:[1,0,0]
	v_pk_fma_f32 v[18:19], v[92:93], v[30:31], v[12:13] op_sel:[0,0,1] op_sel_hi:[1,1,0]
	v_pk_fma_f32 v[12:13], v[92:93], v[30:31], v[12:13] op_sel:[0,0,1] op_sel_hi:[1,1,0] neg_lo:[0,0,1] neg_hi:[0,0,1]
	v_pk_mul_f32 v[14:15], v[14:15], s[0:1] op_sel_hi:[1,0]
	v_mov_b32_e32 v19, v13
	v_pk_add_f32 v[22:23], v[4:5], v[14:15] op_sel:[0,1] op_sel_hi:[1,0] neg_lo:[0,1] neg_hi:[0,1]
	v_pk_add_f32 v[4:5], v[14:15], v[4:5] op_sel:[1,0] op_sel_hi:[0,1]
	v_pk_add_f32 v[12:13], v[26:27], v[18:19]
	v_mov_b32_e32 v14, v4
	v_mov_b32_e32 v37, v7
	;; [unrolled: 1-line block ×3, first 2 shown]
	v_pk_add_f32 v[20:21], v[26:27], v[18:19] neg_lo:[0,1] neg_hi:[0,1]
	v_fmac_f32_e32 v7, -0.5, v13
	v_fmac_f32_e32 v4, -0.5, v12
	v_fmamk_f32 v12, v20, 0x3f5db3d7, v7
	v_fmac_f32_e32 v7, 0xbf5db3d7, v20
	v_pk_add_f32 v[2:3], v[2:3], v[24:25]
	v_fmamk_f32 v6, v21, 0xbf5db3d7, v4
	v_pk_add_f32 v[26:27], v[36:37], v[26:27]
	v_mul_f32_e32 v13, 0xbf5db3d7, v12
	v_mul_f32_e32 v20, 0.5, v12
	v_pk_add_f32 v[2:3], v[2:3], v[10:11]
	v_mov_b32_e32 v10, v7
	v_pk_add_f32 v[28:29], v[16:17], v[38:39]
	v_fmac_f32_e32 v4, 0x3f5db3d7, v21
	v_pk_add_f32 v[18:19], v[26:27], v[18:19]
	v_fmac_f32_e32 v13, 0.5, v6
	v_fmac_f32_e32 v20, 0x3f5db3d7, v6
	v_pk_mul_f32 v[10:11], v[10:11], s[0:1] op_sel_hi:[0,1]
	v_pk_add_f32 v[16:17], v[16:17], v[38:39] neg_lo:[0,1] neg_hi:[0,1]
	v_mov_b32_e32 v15, v23
	v_add_f32_e32 v6, v22, v13
	v_pk_fma_f32 v[10:11], v[4:5], s[2:3], v[10:11] op_sel_hi:[0,1,1] neg_lo:[0,0,1] neg_hi:[0,0,1]
	v_add_f32_e32 v7, v5, v20
	ds_write2_b64 v111, v[34:35], v[28:29] offset1:51
	ds_write2_b64 v111, v[32:33], v[8:9] offset0:102 offset1:153
	ds_write2_b64 v111, v[16:17], v[0:1] offset0:204 offset1:255
	v_pk_add_f32 v[0:1], v[2:3], v[18:19]
	v_sub_f32_e32 v4, v22, v13
	v_pk_add_f32 v[12:13], v[2:3], v[18:19] neg_lo:[0,1] neg_hi:[0,1]
	v_sub_f32_e32 v5, v5, v20
	ds_write2_b64 v46, v[0:1], v[6:7] offset0:50 offset1:101
	v_pk_add_f32 v[0:1], v[14:15], v[10:11]
	v_pk_add_f32 v[20:21], v[14:15], v[10:11] neg_lo:[0,1] neg_hi:[0,1]
	ds_write2_b64 v46, v[0:1], v[12:13] offset0:152 offset1:203
	ds_write2_b64 v47, v[4:5], v[20:21] offset0:126 offset1:177
	s_waitcnt lgkmcnt(0)
	; wave barrier
	s_waitcnt lgkmcnt(0)
	ds_read2_b64 v[0:3], v46 offset0:50 offset1:101
	ds_read2_b64 v[4:7], v111 offset1:51
	s_waitcnt lgkmcnt(1)
	v_pk_mul_f32 v[8:9], v[78:79], v[0:1] op_sel:[1,0]
	s_nop 0
	v_pk_fma_f32 v[10:11], v[78:79], v[0:1], v[8:9] op_sel:[0,0,1] op_sel_hi:[1,1,0]
	v_pk_fma_f32 v[0:1], v[78:79], v[0:1], v[8:9] op_sel:[0,0,1] op_sel_hi:[0,1,0] neg_lo:[0,0,1] neg_hi:[0,0,1]
	v_mov_b32_e32 v11, v1
	s_waitcnt lgkmcnt(0)
	v_pk_add_f32 v[8:9], v[4:5], v[10:11] neg_lo:[0,1] neg_hi:[0,1]
	v_pk_mul_f32 v[0:1], v[80:81], v[2:3] op_sel:[1,0]
	v_pk_fma_f32 v[10:11], v[4:5], 2.0, v[8:9] op_sel_hi:[1,0,1] neg_lo:[0,0,1] neg_hi:[0,0,1]
	v_pk_fma_f32 v[4:5], v[80:81], v[2:3], v[0:1] op_sel:[0,0,1] op_sel_hi:[1,1,0]
	v_pk_fma_f32 v[12:13], v[80:81], v[2:3], v[0:1] op_sel:[0,0,1] op_sel_hi:[0,1,0] neg_lo:[0,0,1] neg_hi:[0,0,1]
	ds_read2_b64 v[0:3], v46 offset0:152 offset1:203
	v_mov_b32_e32 v5, v13
	v_pk_add_f32 v[12:13], v[6:7], v[4:5] neg_lo:[0,1] neg_hi:[0,1]
	s_waitcnt lgkmcnt(0)
	v_pk_mul_f32 v[16:17], v[82:83], v[0:1]
	v_pk_fma_f32 v[14:15], v[6:7], 2.0, v[12:13] op_sel_hi:[1,0,1] neg_lo:[0,0,1] neg_hi:[0,0,1]
	ds_read2_b64 v[4:7], v111 offset0:102 offset1:153
	v_pk_fma_f32 v[18:19], v[90:91], v[0:1], v[16:17] op_sel:[0,0,1] op_sel_hi:[1,1,0]
	v_pk_fma_f32 v[0:1], v[90:91], v[0:1], v[16:17] op_sel:[0,0,1] op_sel_hi:[1,1,0] neg_lo:[0,0,1] neg_hi:[0,0,1]
	s_nop 0
	v_mov_b32_e32 v19, v1
	s_waitcnt lgkmcnt(0)
	v_pk_add_f32 v[16:17], v[4:5], v[18:19] neg_lo:[0,1] neg_hi:[0,1]
	v_pk_mul_f32 v[0:1], v[76:77], v[2:3]
	v_pk_fma_f32 v[18:19], v[4:5], 2.0, v[16:17] op_sel_hi:[1,0,1] neg_lo:[0,0,1] neg_hi:[0,0,1]
	v_pk_fma_f32 v[4:5], v[88:89], v[2:3], v[0:1] op_sel:[0,0,1] op_sel_hi:[1,1,0]
	v_pk_fma_f32 v[20:21], v[88:89], v[2:3], v[0:1] op_sel:[0,0,1] op_sel_hi:[1,1,0] neg_lo:[0,0,1] neg_hi:[0,0,1]
	ds_read2_b64 v[0:3], v47 offset0:126 offset1:177
	v_mov_b32_e32 v5, v21
	v_pk_add_f32 v[20:21], v[6:7], v[4:5] neg_lo:[0,1] neg_hi:[0,1]
	s_waitcnt lgkmcnt(0)
	v_pk_mul_f32 v[24:25], v[72:73], v[0:1] op_sel:[1,0]
	v_pk_fma_f32 v[22:23], v[6:7], 2.0, v[20:21] op_sel_hi:[1,0,1] neg_lo:[0,0,1] neg_hi:[0,0,1]
	ds_read2_b64 v[4:7], v111 offset0:204 offset1:255
	v_pk_fma_f32 v[26:27], v[72:73], v[0:1], v[24:25] op_sel:[0,0,1] op_sel_hi:[1,1,0]
	v_pk_fma_f32 v[0:1], v[72:73], v[0:1], v[24:25] op_sel:[0,0,1] op_sel_hi:[0,1,0] neg_lo:[0,0,1] neg_hi:[0,0,1]
	v_mov_b32_e32 v27, v1
	v_pk_mul_f32 v[24:25], v[74:75], v[2:3]
	s_waitcnt lgkmcnt(0)
	v_pk_add_f32 v[0:1], v[4:5], v[26:27] neg_lo:[0,1] neg_hi:[0,1]
	v_pk_fma_f32 v[26:27], v[86:87], v[2:3], v[24:25] op_sel:[0,0,1] op_sel_hi:[1,1,0]
	v_pk_fma_f32 v[2:3], v[86:87], v[2:3], v[24:25] op_sel:[0,0,1] op_sel_hi:[1,1,0] neg_lo:[0,0,1] neg_hi:[0,0,1]
	v_pk_fma_f32 v[4:5], v[4:5], 2.0, v[0:1] op_sel_hi:[1,0,1] neg_lo:[0,0,1] neg_hi:[0,0,1]
	v_mov_b32_e32 v27, v3
	v_pk_add_f32 v[2:3], v[6:7], v[26:27] neg_lo:[0,1] neg_hi:[0,1]
	s_nop 0
	v_pk_fma_f32 v[6:7], v[6:7], 2.0, v[2:3] op_sel_hi:[1,0,1] neg_lo:[0,0,1] neg_hi:[0,0,1]
	ds_write2_b64 v46, v[8:9], v[12:13] offset0:50 offset1:101
	ds_write2_b64 v111, v[10:11], v[14:15] offset1:51
	ds_write2_b64 v111, v[18:19], v[22:23] offset0:102 offset1:153
	ds_write2_b64 v46, v[16:17], v[20:21] offset0:152 offset1:203
	;; [unrolled: 1-line block ×4, first 2 shown]
	s_waitcnt lgkmcnt(0)
	; wave barrier
	s_waitcnt lgkmcnt(0)
	s_and_b64 exec, exec, vcc
	s_cbranch_execz .LBB0_15
; %bb.14:
	global_load_dwordx2 v[2:3], v58, s[8:9]
	ds_read_b64 v[6:7], v111
	v_mad_u64_u32 v[4:5], s[0:1], s6, v250, 0
	v_mov_b32_e32 v10, v5
	v_mad_u64_u32 v[10:11], s[2:3], s7, v250, v[10:11]
	v_mov_b32_e32 v0, s12
	v_mov_b32_e32 v1, s13
	v_mov_b32_e32 v5, v10
	v_mad_u64_u32 v[8:9], s[2:3], s4, v248, 0
	v_lshl_add_u64 v[0:1], v[4:5], 3, v[0:1]
	s_mov_b32 s0, 0x1ac5701b
	v_mov_b32_e32 v12, v9
	s_mov_b32 s1, 0x3f5ac570
	v_mad_u64_u32 v[12:13], s[2:3], s5, v248, v[12:13]
	v_mov_b32_e32 v9, v12
	v_lshl_add_u64 v[8:9], v[8:9], 3, v[0:1]
	v_mov_b32_e32 v10, 0x120
	s_mul_i32 s2, s5, 0x120
	v_mov_b32_e32 v59, 0
	s_movk_i32 s3, 0x1000
	s_waitcnt vmcnt(0) lgkmcnt(0)
	v_mul_f32_e32 v4, v7, v3
	v_mul_f32_e32 v3, v6, v3
	v_fmac_f32_e32 v4, v6, v2
	v_fma_f32 v5, v2, v7, -v3
	v_cvt_f64_f32_e32 v[2:3], v4
	v_cvt_f64_f32_e32 v[4:5], v5
	v_mul_f64 v[2:3], v[2:3], s[0:1]
	v_mul_f64 v[4:5], v[4:5], s[0:1]
	v_cvt_f32_f64_e32 v2, v[2:3]
	v_cvt_f32_f64_e32 v3, v[4:5]
	global_store_dwordx2 v[8:9], v[2:3], off
	global_load_dwordx2 v[6:7], v58, s[8:9] offset:288
	ds_read2_b64 v[2:5], v110 offset0:36 offset1:72
	v_mad_u64_u32 v[8:9], s[6:7], s4, v10, v[8:9]
	v_add_u32_e32 v9, s2, v9
	s_waitcnt vmcnt(0) lgkmcnt(0)
	v_mul_f32_e32 v11, v3, v7
	v_mul_f32_e32 v7, v2, v7
	v_fmac_f32_e32 v11, v2, v6
	v_fma_f32 v6, v6, v3, -v7
	v_cvt_f64_f32_e32 v[2:3], v11
	v_cvt_f64_f32_e32 v[6:7], v6
	v_mul_f64 v[2:3], v[2:3], s[0:1]
	v_mul_f64 v[6:7], v[6:7], s[0:1]
	v_cvt_f32_f64_e32 v2, v[2:3]
	v_cvt_f32_f64_e32 v3, v[6:7]
	global_store_dwordx2 v[8:9], v[2:3], off
	global_load_dwordx2 v[2:3], v58, s[8:9] offset:576
	v_mad_u64_u32 v[6:7], s[6:7], s4, v10, v[8:9]
	v_add_u32_e32 v7, s2, v7
	s_waitcnt vmcnt(0)
	v_mul_f32_e32 v8, v5, v3
	v_mul_f32_e32 v3, v4, v3
	v_fmac_f32_e32 v8, v4, v2
	v_fma_f32 v4, v2, v5, -v3
	v_cvt_f64_f32_e32 v[2:3], v8
	v_cvt_f64_f32_e32 v[4:5], v4
	v_mul_f64 v[2:3], v[2:3], s[0:1]
	v_mul_f64 v[4:5], v[4:5], s[0:1]
	v_cvt_f32_f64_e32 v2, v[2:3]
	v_cvt_f32_f64_e32 v3, v[4:5]
	global_store_dwordx2 v[6:7], v[2:3], off
	global_load_dwordx2 v[8:9], v58, s[8:9] offset:864
	ds_read2_b64 v[2:5], v110 offset0:108 offset1:144
	v_mad_u64_u32 v[6:7], s[6:7], s4, v10, v[6:7]
	v_add_u32_e32 v7, s2, v7
	s_waitcnt vmcnt(0) lgkmcnt(0)
	v_mul_f32_e32 v11, v3, v9
	v_mul_f32_e32 v9, v2, v9
	v_fmac_f32_e32 v11, v2, v8
	v_fma_f32 v8, v8, v3, -v9
	v_cvt_f64_f32_e32 v[2:3], v11
	v_cvt_f64_f32_e32 v[8:9], v8
	v_mul_f64 v[2:3], v[2:3], s[0:1]
	v_mul_f64 v[8:9], v[8:9], s[0:1]
	v_cvt_f32_f64_e32 v2, v[2:3]
	v_cvt_f32_f64_e32 v3, v[8:9]
	global_store_dwordx2 v[6:7], v[2:3], off
	global_load_dwordx2 v[2:3], v58, s[8:9] offset:1152
	v_mad_u64_u32 v[6:7], s[6:7], s4, v10, v[6:7]
	v_add_u32_e32 v7, s2, v7
	s_waitcnt vmcnt(0)
	;; [unrolled: 31-line block ×3, first 2 shown]
	v_mul_f32_e32 v8, v5, v3
	v_mul_f32_e32 v3, v4, v3
	v_fmac_f32_e32 v8, v4, v2
	v_fma_f32 v4, v2, v5, -v3
	v_cvt_f64_f32_e32 v[2:3], v8
	v_cvt_f64_f32_e32 v[4:5], v4
	v_mul_f64 v[2:3], v[2:3], s[0:1]
	v_mul_f64 v[4:5], v[4:5], s[0:1]
	v_cvt_f32_f64_e32 v2, v[2:3]
	v_cvt_f32_f64_e32 v3, v[4:5]
	global_store_dwordx2 v[6:7], v[2:3], off
	global_load_dwordx2 v[8:9], v58, s[8:9] offset:2016
	v_add_u32_e32 v2, 0x400, v110
	ds_read2_b64 v[2:5], v2 offset0:124 offset1:160
	v_mad_u64_u32 v[6:7], s[6:7], s4, v10, v[6:7]
	v_add_u32_e32 v7, s2, v7
	s_waitcnt vmcnt(0) lgkmcnt(0)
	v_mul_f32_e32 v11, v3, v9
	v_mul_f32_e32 v9, v2, v9
	v_fmac_f32_e32 v11, v2, v8
	v_fma_f32 v8, v8, v3, -v9
	v_cvt_f64_f32_e32 v[2:3], v11
	v_cvt_f64_f32_e32 v[8:9], v8
	v_mul_f64 v[2:3], v[2:3], s[0:1]
	v_mul_f64 v[8:9], v[8:9], s[0:1]
	v_cvt_f32_f64_e32 v2, v[2:3]
	v_cvt_f32_f64_e32 v3, v[8:9]
	global_store_dwordx2 v[6:7], v[2:3], off
	global_load_dwordx2 v[2:3], v58, s[8:9] offset:2304
	v_mad_u64_u32 v[6:7], s[6:7], s4, v10, v[6:7]
	v_add_u32_e32 v7, s2, v7
	v_add_u32_e32 v11, 0x800, v110
	s_waitcnt vmcnt(0)
	v_mul_f32_e32 v8, v5, v3
	v_mul_f32_e32 v3, v4, v3
	v_fmac_f32_e32 v8, v4, v2
	v_fma_f32 v4, v2, v5, -v3
	v_cvt_f64_f32_e32 v[2:3], v8
	v_cvt_f64_f32_e32 v[4:5], v4
	v_mul_f64 v[2:3], v[2:3], s[0:1]
	v_mul_f64 v[4:5], v[4:5], s[0:1]
	v_cvt_f32_f64_e32 v2, v[2:3]
	v_cvt_f32_f64_e32 v3, v[4:5]
	global_store_dwordx2 v[6:7], v[2:3], off
	global_load_dwordx2 v[8:9], v58, s[8:9] offset:2592
	ds_read2_b64 v[2:5], v11 offset0:68 offset1:104
	v_mad_u64_u32 v[6:7], s[6:7], s4, v10, v[6:7]
	v_add_u32_e32 v7, s2, v7
	s_waitcnt vmcnt(0) lgkmcnt(0)
	v_mul_f32_e32 v12, v3, v9
	v_mul_f32_e32 v9, v2, v9
	v_fmac_f32_e32 v12, v2, v8
	v_fma_f32 v8, v8, v3, -v9
	v_cvt_f64_f32_e32 v[2:3], v12
	v_cvt_f64_f32_e32 v[8:9], v8
	v_mul_f64 v[2:3], v[2:3], s[0:1]
	v_mul_f64 v[8:9], v[8:9], s[0:1]
	v_cvt_f32_f64_e32 v2, v[2:3]
	v_cvt_f32_f64_e32 v3, v[8:9]
	global_store_dwordx2 v[6:7], v[2:3], off
	global_load_dwordx2 v[2:3], v58, s[8:9] offset:2880
	v_mad_u64_u32 v[6:7], s[6:7], s4, v10, v[6:7]
	v_add_u32_e32 v7, s2, v7
	s_waitcnt vmcnt(0)
	v_mul_f32_e32 v8, v5, v3
	v_mul_f32_e32 v3, v4, v3
	v_fmac_f32_e32 v8, v4, v2
	v_fma_f32 v4, v2, v5, -v3
	v_cvt_f64_f32_e32 v[2:3], v8
	v_cvt_f64_f32_e32 v[4:5], v4
	v_mul_f64 v[2:3], v[2:3], s[0:1]
	v_mul_f64 v[4:5], v[4:5], s[0:1]
	v_cvt_f32_f64_e32 v2, v[2:3]
	v_cvt_f32_f64_e32 v3, v[4:5]
	global_store_dwordx2 v[6:7], v[2:3], off
	global_load_dwordx2 v[8:9], v58, s[8:9] offset:3168
	ds_read2_b64 v[2:5], v11 offset0:140 offset1:176
	v_mad_u64_u32 v[6:7], s[6:7], s4, v10, v[6:7]
	v_add_u32_e32 v7, s2, v7
	s_waitcnt vmcnt(0) lgkmcnt(0)
	v_mul_f32_e32 v12, v3, v9
	v_mul_f32_e32 v9, v2, v9
	v_fmac_f32_e32 v12, v2, v8
	v_fma_f32 v8, v8, v3, -v9
	v_cvt_f64_f32_e32 v[2:3], v12
	v_cvt_f64_f32_e32 v[8:9], v8
	v_mul_f64 v[2:3], v[2:3], s[0:1]
	v_mul_f64 v[8:9], v[8:9], s[0:1]
	v_cvt_f32_f64_e32 v2, v[2:3]
	v_cvt_f32_f64_e32 v3, v[8:9]
	global_store_dwordx2 v[6:7], v[2:3], off
	global_load_dwordx2 v[2:3], v58, s[8:9] offset:3456
	v_mad_u64_u32 v[6:7], s[6:7], s4, v10, v[6:7]
	v_add_u32_e32 v7, s2, v7
	s_waitcnt vmcnt(0)
	v_mul_f32_e32 v8, v5, v3
	v_mul_f32_e32 v3, v4, v3
	v_fmac_f32_e32 v8, v4, v2
	v_fma_f32 v4, v2, v5, -v3
	v_cvt_f64_f32_e32 v[2:3], v8
	v_cvt_f64_f32_e32 v[4:5], v4
	v_mul_f64 v[2:3], v[2:3], s[0:1]
	v_mul_f64 v[4:5], v[4:5], s[0:1]
	v_cvt_f32_f64_e32 v2, v[2:3]
	v_cvt_f32_f64_e32 v3, v[4:5]
	global_store_dwordx2 v[6:7], v[2:3], off
	global_load_dwordx2 v[8:9], v58, s[8:9] offset:3744
	ds_read2_b64 v[2:5], v11 offset0:212 offset1:248
	v_mad_u64_u32 v[6:7], s[6:7], s4, v10, v[6:7]
	v_add_u32_e32 v7, s2, v7
	s_waitcnt vmcnt(0) lgkmcnt(0)
	v_mul_f32_e32 v11, v3, v9
	v_mul_f32_e32 v9, v2, v9
	v_fmac_f32_e32 v11, v2, v8
	v_fma_f32 v8, v8, v3, -v9
	v_cvt_f64_f32_e32 v[2:3], v11
	v_cvt_f64_f32_e32 v[8:9], v8
	v_mul_f64 v[2:3], v[2:3], s[0:1]
	v_mul_f64 v[8:9], v[8:9], s[0:1]
	v_cvt_f32_f64_e32 v2, v[2:3]
	v_cvt_f32_f64_e32 v3, v[8:9]
	global_store_dwordx2 v[6:7], v[2:3], off
	global_load_dwordx2 v[2:3], v58, s[8:9] offset:4032
	v_lshl_add_u64 v[8:9], s[8:9], 0, v[58:59]
	v_mad_u64_u32 v[6:7], s[6:7], s4, v10, v[6:7]
	v_add_co_u32_e32 v8, vcc, s3, v8
	v_add_u32_e32 v7, s2, v7
	s_nop 0
	v_addc_co_u32_e32 v9, vcc, 0, v9, vcc
	s_waitcnt vmcnt(0)
	v_mul_f32_e32 v11, v5, v3
	v_mul_f32_e32 v3, v4, v3
	v_fmac_f32_e32 v11, v4, v2
	v_fma_f32 v4, v2, v5, -v3
	v_cvt_f64_f32_e32 v[2:3], v11
	v_cvt_f64_f32_e32 v[4:5], v4
	v_mul_f64 v[2:3], v[2:3], s[0:1]
	v_mul_f64 v[4:5], v[4:5], s[0:1]
	v_cvt_f32_f64_e32 v2, v[2:3]
	v_cvt_f32_f64_e32 v3, v[4:5]
	global_store_dwordx2 v[6:7], v[2:3], off
	global_load_dwordx2 v[8:9], v[8:9], off offset:224
	v_add_u32_e32 v2, 0x1000, v110
	ds_read2_b64 v[2:5], v2 offset0:28 offset1:64
	v_mad_u64_u32 v[6:7], s[6:7], s4, v10, v[6:7]
	v_or_b32_e32 v11, 0x240, v248
	v_add_u32_e32 v7, s2, v7
	v_lshlrev_b32_e32 v12, 3, v11
	s_waitcnt vmcnt(0) lgkmcnt(0)
	v_mul_f32_e32 v10, v3, v9
	v_mul_f32_e32 v9, v2, v9
	v_fmac_f32_e32 v10, v2, v8
	v_fma_f32 v8, v8, v3, -v9
	v_cvt_f64_f32_e32 v[2:3], v10
	v_cvt_f64_f32_e32 v[8:9], v8
	v_mul_f64 v[2:3], v[2:3], s[0:1]
	v_mul_f64 v[8:9], v[8:9], s[0:1]
	v_cvt_f32_f64_e32 v2, v[2:3]
	v_cvt_f32_f64_e32 v3, v[8:9]
	global_store_dwordx2 v[6:7], v[2:3], off
	global_load_dwordx2 v[2:3], v12, s[8:9]
	v_mad_u64_u32 v[6:7], s[2:3], s4, v11, 0
	v_mov_b32_e32 v8, v7
	v_mad_u64_u32 v[8:9], s[2:3], s5, v11, v[8:9]
	v_mov_b32_e32 v7, v8
	v_lshl_add_u64 v[0:1], v[6:7], 3, v[0:1]
	s_waitcnt vmcnt(0)
	v_mul_f32_e32 v8, v5, v3
	v_mul_f32_e32 v3, v4, v3
	v_fmac_f32_e32 v8, v4, v2
	v_fma_f32 v4, v2, v5, -v3
	v_cvt_f64_f32_e32 v[2:3], v8
	v_cvt_f64_f32_e32 v[4:5], v4
	v_mul_f64 v[2:3], v[2:3], s[0:1]
	v_mul_f64 v[4:5], v[4:5], s[0:1]
	v_cvt_f32_f64_e32 v2, v[2:3]
	v_cvt_f32_f64_e32 v3, v[4:5]
	global_store_dwordx2 v[0:1], v[2:3], off
.LBB0_15:
	s_endpgm
	.section	.rodata,"a",@progbits
	.p2align	6, 0x0
	.amdhsa_kernel bluestein_single_fwd_len612_dim1_sp_op_CI_CI
		.amdhsa_group_segment_fixed_size 4896
		.amdhsa_private_segment_fixed_size 0
		.amdhsa_kernarg_size 104
		.amdhsa_user_sgpr_count 2
		.amdhsa_user_sgpr_dispatch_ptr 0
		.amdhsa_user_sgpr_queue_ptr 0
		.amdhsa_user_sgpr_kernarg_segment_ptr 1
		.amdhsa_user_sgpr_dispatch_id 0
		.amdhsa_user_sgpr_kernarg_preload_length 0
		.amdhsa_user_sgpr_kernarg_preload_offset 0
		.amdhsa_user_sgpr_private_segment_size 0
		.amdhsa_uses_dynamic_stack 0
		.amdhsa_enable_private_segment 0
		.amdhsa_system_sgpr_workgroup_id_x 1
		.amdhsa_system_sgpr_workgroup_id_y 0
		.amdhsa_system_sgpr_workgroup_id_z 0
		.amdhsa_system_sgpr_workgroup_info 0
		.amdhsa_system_vgpr_workitem_id 0
		.amdhsa_next_free_vgpr 280
		.amdhsa_next_free_sgpr 62
		.amdhsa_accum_offset 256
		.amdhsa_reserve_vcc 1
		.amdhsa_float_round_mode_32 0
		.amdhsa_float_round_mode_16_64 0
		.amdhsa_float_denorm_mode_32 3
		.amdhsa_float_denorm_mode_16_64 3
		.amdhsa_dx10_clamp 1
		.amdhsa_ieee_mode 1
		.amdhsa_fp16_overflow 0
		.amdhsa_tg_split 0
		.amdhsa_exception_fp_ieee_invalid_op 0
		.amdhsa_exception_fp_denorm_src 0
		.amdhsa_exception_fp_ieee_div_zero 0
		.amdhsa_exception_fp_ieee_overflow 0
		.amdhsa_exception_fp_ieee_underflow 0
		.amdhsa_exception_fp_ieee_inexact 0
		.amdhsa_exception_int_div_zero 0
	.end_amdhsa_kernel
	.text
.Lfunc_end0:
	.size	bluestein_single_fwd_len612_dim1_sp_op_CI_CI, .Lfunc_end0-bluestein_single_fwd_len612_dim1_sp_op_CI_CI
                                        ; -- End function
	.section	.AMDGPU.csdata,"",@progbits
; Kernel info:
; codeLenInByte = 17128
; NumSgprs: 68
; NumVgprs: 256
; NumAgprs: 24
; TotalNumVgprs: 280
; ScratchSize: 0
; MemoryBound: 0
; FloatMode: 240
; IeeeMode: 1
; LDSByteSize: 4896 bytes/workgroup (compile time only)
; SGPRBlocks: 8
; VGPRBlocks: 34
; NumSGPRsForWavesPerEU: 68
; NumVGPRsForWavesPerEU: 280
; AccumOffset: 256
; Occupancy: 1
; WaveLimiterHint : 1
; COMPUTE_PGM_RSRC2:SCRATCH_EN: 0
; COMPUTE_PGM_RSRC2:USER_SGPR: 2
; COMPUTE_PGM_RSRC2:TRAP_HANDLER: 0
; COMPUTE_PGM_RSRC2:TGID_X_EN: 1
; COMPUTE_PGM_RSRC2:TGID_Y_EN: 0
; COMPUTE_PGM_RSRC2:TGID_Z_EN: 0
; COMPUTE_PGM_RSRC2:TIDIG_COMP_CNT: 0
; COMPUTE_PGM_RSRC3_GFX90A:ACCUM_OFFSET: 63
; COMPUTE_PGM_RSRC3_GFX90A:TG_SPLIT: 0
	.text
	.p2alignl 6, 3212836864
	.fill 256, 4, 3212836864
	.type	__hip_cuid_5a5f07e34aebaaf0,@object ; @__hip_cuid_5a5f07e34aebaaf0
	.section	.bss,"aw",@nobits
	.globl	__hip_cuid_5a5f07e34aebaaf0
__hip_cuid_5a5f07e34aebaaf0:
	.byte	0                               ; 0x0
	.size	__hip_cuid_5a5f07e34aebaaf0, 1

	.ident	"AMD clang version 19.0.0git (https://github.com/RadeonOpenCompute/llvm-project roc-6.4.0 25133 c7fe45cf4b819c5991fe208aaa96edf142730f1d)"
	.section	".note.GNU-stack","",@progbits
	.addrsig
	.addrsig_sym __hip_cuid_5a5f07e34aebaaf0
	.amdgpu_metadata
---
amdhsa.kernels:
  - .agpr_count:     24
    .args:
      - .actual_access:  read_only
        .address_space:  global
        .offset:         0
        .size:           8
        .value_kind:     global_buffer
      - .actual_access:  read_only
        .address_space:  global
        .offset:         8
        .size:           8
        .value_kind:     global_buffer
      - .actual_access:  read_only
        .address_space:  global
        .offset:         16
        .size:           8
        .value_kind:     global_buffer
      - .actual_access:  read_only
        .address_space:  global
        .offset:         24
        .size:           8
        .value_kind:     global_buffer
      - .actual_access:  read_only
        .address_space:  global
        .offset:         32
        .size:           8
        .value_kind:     global_buffer
      - .offset:         40
        .size:           8
        .value_kind:     by_value
      - .address_space:  global
        .offset:         48
        .size:           8
        .value_kind:     global_buffer
      - .address_space:  global
        .offset:         56
        .size:           8
        .value_kind:     global_buffer
      - .address_space:  global
        .offset:         64
        .size:           8
        .value_kind:     global_buffer
      - .address_space:  global
        .offset:         72
        .size:           8
        .value_kind:     global_buffer
      - .offset:         80
        .size:           4
        .value_kind:     by_value
      - .address_space:  global
        .offset:         88
        .size:           8
        .value_kind:     global_buffer
      - .address_space:  global
        .offset:         96
        .size:           8
        .value_kind:     global_buffer
    .group_segment_fixed_size: 4896
    .kernarg_segment_align: 8
    .kernarg_segment_size: 104
    .language:       OpenCL C
    .language_version:
      - 2
      - 0
    .max_flat_workgroup_size: 51
    .name:           bluestein_single_fwd_len612_dim1_sp_op_CI_CI
    .private_segment_fixed_size: 0
    .sgpr_count:     68
    .sgpr_spill_count: 0
    .symbol:         bluestein_single_fwd_len612_dim1_sp_op_CI_CI.kd
    .uniform_work_group_size: 1
    .uses_dynamic_stack: false
    .vgpr_count:     280
    .vgpr_spill_count: 0
    .wavefront_size: 64
amdhsa.target:   amdgcn-amd-amdhsa--gfx950
amdhsa.version:
  - 1
  - 2
...

	.end_amdgpu_metadata
